;; amdgpu-corpus repo=ROCm/rocFFT kind=compiled arch=gfx906 opt=O3
	.text
	.amdgcn_target "amdgcn-amd-amdhsa--gfx906"
	.amdhsa_code_object_version 6
	.protected	bluestein_single_fwd_len1755_dim1_dp_op_CI_CI ; -- Begin function bluestein_single_fwd_len1755_dim1_dp_op_CI_CI
	.globl	bluestein_single_fwd_len1755_dim1_dp_op_CI_CI
	.p2align	8
	.type	bluestein_single_fwd_len1755_dim1_dp_op_CI_CI,@function
bluestein_single_fwd_len1755_dim1_dp_op_CI_CI: ; @bluestein_single_fwd_len1755_dim1_dp_op_CI_CI
; %bb.0:
	s_load_dwordx4 s[8:11], s[4:5], 0x28
	s_mov_b64 s[54:55], s[2:3]
	v_mul_u32_u24_e32 v1, 0x231, v0
	s_mov_b64 s[52:53], s[0:1]
	v_add_u32_sdwa v4, s6, v1 dst_sel:DWORD dst_unused:UNUSED_PAD src0_sel:DWORD src1_sel:WORD_1
	v_mov_b32_e32 v5, 0
	s_add_u32 s52, s52, s7
	s_waitcnt lgkmcnt(0)
	v_cmp_gt_u64_e32 vcc, s[8:9], v[4:5]
	s_addc_u32 s53, s53, 0
	s_and_saveexec_b64 s[0:1], vcc
	s_cbranch_execz .LBB0_15
; %bb.1:
	s_load_dwordx4 s[0:3], s[4:5], 0x18
	v_mov_b32_e32 v5, v4
	s_waitcnt lgkmcnt(0)
	s_load_dwordx4 s[12:15], s[0:1], 0x0
	s_movk_i32 s0, 0x75
	v_mul_lo_u16_sdwa v1, v1, s0 dst_sel:DWORD dst_unused:UNUSED_PAD src0_sel:WORD_1 src1_sel:DWORD
	v_sub_u16_e32 v220, v0, v1
	buffer_store_dword v5, off, s[52:55], 0 offset:176 ; 4-byte Folded Spill
	s_nop 0
	buffer_store_dword v6, off, s[52:55], 0 offset:180 ; 4-byte Folded Spill
	s_waitcnt lgkmcnt(0)
	v_mad_u64_u32 v[0:1], s[0:1], s14, v4, 0
	v_mad_u64_u32 v[2:3], s[0:1], s12, v220, 0
	v_lshlrev_b32_e32 v80, 4, v220
	s_mul_i32 s6, s13, 0x87
	v_mad_u64_u32 v[4:5], s[0:1], s15, v4, v[1:2]
	s_load_dwordx2 s[14:15], s[4:5], 0x0
	s_mul_hi_u32 s7, s12, 0x87
	v_mad_u64_u32 v[5:6], s[0:1], s13, v220, v[3:4]
	v_mov_b32_e32 v1, v4
	v_lshlrev_b64 v[0:1], 4, v[0:1]
	v_mov_b32_e32 v6, s11
	v_mov_b32_e32 v3, v5
	v_add_co_u32_e32 v4, vcc, s10, v0
	v_addc_co_u32_e32 v5, vcc, v6, v1, vcc
	v_lshlrev_b64 v[0:1], 4, v[2:3]
	s_waitcnt lgkmcnt(0)
	v_mov_b32_e32 v2, s15
	v_add_co_u32_e32 v0, vcc, v4, v0
	v_add_co_u32_e64 v64, s[0:1], s14, v80
	s_add_i32 s7, s7, s6
	s_mul_i32 s6, s12, 0x87
	v_addc_co_u32_e32 v1, vcc, v5, v1, vcc
	v_addc_co_u32_e64 v65, vcc, 0, v2, s[0:1]
	s_lshl_b64 s[16:17], s[6:7], 4
	v_mov_b32_e32 v13, s17
	v_add_co_u32_e32 v2, vcc, s16, v0
	v_addc_co_u32_e32 v3, vcc, v1, v13, vcc
	global_load_dwordx4 v[14:17], v[0:1], off
	global_load_dwordx4 v[18:21], v[2:3], off
	global_load_dwordx4 v[72:75], v80, s[14:15]
	global_load_dwordx4 v[113:116], v80, s[14:15] offset:2160
	v_add_co_u32_e32 v2, vcc, s16, v2
	v_addc_co_u32_e32 v3, vcc, v3, v13, vcc
	s_movk_i32 s6, 0x1000
	v_add_co_u32_e32 v0, vcc, s6, v64
	v_addc_co_u32_e32 v1, vcc, 0, v65, vcc
	global_load_dwordx4 v[22:25], v[2:3], off
	v_add_co_u32_e32 v2, vcc, s16, v2
	v_addc_co_u32_e32 v3, vcc, v3, v13, vcc
	v_add_co_u32_e32 v4, vcc, s16, v2
	v_addc_co_u32_e32 v5, vcc, v3, v13, vcc
	s_movk_i32 s6, 0x2000
	global_load_dwordx4 v[117:120], v[0:1], off offset:224
	global_load_dwordx4 v[89:92], v[0:1], off offset:2384
	global_load_dwordx4 v[26:29], v[2:3], off
	global_load_dwordx4 v[30:33], v[4:5], off
	v_add_co_u32_e32 v2, vcc, s6, v64
	v_addc_co_u32_e32 v3, vcc, 0, v65, vcc
	v_add_co_u32_e32 v4, vcc, s16, v4
	v_addc_co_u32_e32 v5, vcc, v5, v13, vcc
	;; [unrolled: 2-line block ×3, first 2 shown]
	s_movk_i32 s6, 0x3000
	global_load_dwordx4 v[34:37], v[4:5], off
	global_load_dwordx4 v[121:124], v[2:3], off offset:448
	global_load_dwordx4 v[93:96], v[2:3], off offset:2608
	v_add_co_u32_e32 v4, vcc, s6, v64
	v_addc_co_u32_e32 v5, vcc, 0, v65, vcc
	global_load_dwordx4 v[38:41], v[6:7], off
	v_add_co_u32_e32 v6, vcc, s16, v6
	v_addc_co_u32_e32 v7, vcc, v7, v13, vcc
	v_add_co_u32_e32 v8, vcc, s16, v6
	v_addc_co_u32_e32 v9, vcc, v7, v13, vcc
	s_movk_i32 s6, 0x4000
	global_load_dwordx4 v[42:45], v[6:7], off
	global_load_dwordx4 v[125:128], v[4:5], off offset:672
	global_load_dwordx4 v[97:100], v[4:5], off offset:2832
	v_add_co_u32_e32 v6, vcc, s6, v64
	v_addc_co_u32_e32 v7, vcc, 0, v65, vcc
	global_load_dwordx4 v[46:49], v[8:9], off
	v_add_co_u32_e32 v8, vcc, s16, v8
	v_addc_co_u32_e32 v9, vcc, v9, v13, vcc
	v_add_co_u32_e32 v10, vcc, s16, v8
	v_addc_co_u32_e32 v11, vcc, v9, v13, vcc
	;; [unrolled: 11-line block ×3, first 2 shown]
	s_waitcnt vmcnt(18)
	v_mul_f64 v[62:63], v[16:17], v[74:75]
	s_movk_i32 s6, 0x6000
	global_load_dwordx4 v[58:61], v[10:11], off
	global_load_dwordx4 v[105:108], v[8:9], off offset:1120
	global_load_dwordx4 v[85:88], v[8:9], off offset:3280
	v_add_co_u32_e32 v10, vcc, s6, v64
	v_addc_co_u32_e32 v11, vcc, 0, v65, vcc
	global_load_dwordx4 v[66:69], v[12:13], off
	global_load_dwordx4 v[109:112], v[10:11], off offset:1344
	v_mul_f64 v[70:71], v[14:15], v[74:75]
	v_fma_f64 v[14:15], v[14:15], v[72:73], v[62:63]
	buffer_store_dword v72, off, s[52:55], 0 offset:376 ; 4-byte Folded Spill
	s_nop 0
	buffer_store_dword v73, off, s[52:55], 0 offset:380 ; 4-byte Folded Spill
	buffer_store_dword v74, off, s[52:55], 0 offset:384 ; 4-byte Folded Spill
	buffer_store_dword v75, off, s[52:55], 0 offset:388 ; 4-byte Folded Spill
	s_waitcnt vmcnt(26)
	v_mul_f64 v[62:63], v[20:21], v[115:116]
	v_cmp_gt_u16_e32 vcc, 18, v220
	s_waitcnt vmcnt(24)
	v_mul_f64 v[74:75], v[22:23], v[119:120]
	s_waitcnt vmcnt(22)
	v_mul_f64 v[76:77], v[28:29], v[91:92]
	v_mul_f64 v[78:79], v[26:27], v[91:92]
	v_fma_f64 v[26:27], v[26:27], v[89:90], v[76:77]
	s_waitcnt vmcnt(19)
	v_mul_f64 v[81:82], v[32:33], v[123:124]
	v_mul_f64 v[83:84], v[30:31], v[123:124]
	v_fma_f64 v[30:31], v[30:31], v[121:122], v[81:82]
	v_fma_f64 v[16:17], v[16:17], v[72:73], -v[70:71]
	v_mul_f64 v[72:73], v[24:25], v[119:120]
	v_mul_f64 v[70:71], v[18:19], v[115:116]
	v_fma_f64 v[18:19], v[18:19], v[113:114], v[62:63]
	buffer_store_dword v113, off, s[52:55], 0 offset:296 ; 4-byte Folded Spill
	s_nop 0
	buffer_store_dword v114, off, s[52:55], 0 offset:300 ; 4-byte Folded Spill
	buffer_store_dword v115, off, s[52:55], 0 offset:304 ; 4-byte Folded Spill
	;; [unrolled: 1-line block ×3, first 2 shown]
	v_fma_f64 v[22:23], v[22:23], v[117:118], v[72:73]
	buffer_store_dword v117, off, s[52:55], 0 offset:312 ; 4-byte Folded Spill
	s_nop 0
	buffer_store_dword v118, off, s[52:55], 0 offset:316 ; 4-byte Folded Spill
	buffer_store_dword v119, off, s[52:55], 0 offset:320 ; 4-byte Folded Spill
	buffer_store_dword v120, off, s[52:55], 0 offset:324 ; 4-byte Folded Spill
	buffer_store_dword v89, off, s[52:55], 0 offset:200 ; 4-byte Folded Spill
	s_nop 0
	buffer_store_dword v90, off, s[52:55], 0 offset:204 ; 4-byte Folded Spill
	buffer_store_dword v91, off, s[52:55], 0 offset:208 ; 4-byte Folded Spill
	buffer_store_dword v92, off, s[52:55], 0 offset:212 ; 4-byte Folded Spill
	;; [unrolled: 5-line block ×3, first 2 shown]
	s_load_dwordx2 s[6:7], s[4:5], 0x38
	s_load_dwordx4 s[8:11], s[2:3], 0x0
	v_fma_f64 v[20:21], v[20:21], v[113:114], -v[70:71]
	v_fma_f64 v[24:25], v[24:25], v[117:118], -v[74:75]
	v_fma_f64 v[28:29], v[28:29], v[89:90], -v[78:79]
	v_fma_f64 v[32:33], v[32:33], v[121:122], -v[83:84]
	ds_write_b128 v80, v[14:17]
	ds_write_b128 v80, v[18:21] offset:2160
	ds_write_b128 v80, v[22:25] offset:4320
	;; [unrolled: 1-line block ×4, first 2 shown]
	s_waitcnt vmcnt(34)
	v_mul_f64 v[14:15], v[36:37], v[95:96]
	s_waitcnt vmcnt(31)
	v_mul_f64 v[18:19], v[40:41], v[127:128]
	;; [unrolled: 2-line block ×3, first 2 shown]
	v_mul_f64 v[16:17], v[34:35], v[95:96]
	v_mul_f64 v[20:21], v[38:39], v[127:128]
	;; [unrolled: 1-line block ×3, first 2 shown]
	s_waitcnt vmcnt(27)
	v_mul_f64 v[26:27], v[48:49], v[131:132]
	s_waitcnt vmcnt(26)
	v_mul_f64 v[30:31], v[52:53], v[103:104]
	v_fma_f64 v[14:15], v[34:35], v[93:94], v[14:15]
	buffer_store_dword v93, off, s[52:55], 0 offset:216 ; 4-byte Folded Spill
	s_nop 0
	buffer_store_dword v94, off, s[52:55], 0 offset:220 ; 4-byte Folded Spill
	buffer_store_dword v95, off, s[52:55], 0 offset:224 ; 4-byte Folded Spill
	buffer_store_dword v96, off, s[52:55], 0 offset:228 ; 4-byte Folded Spill
	v_fma_f64 v[18:19], v[38:39], v[125:126], v[18:19]
	buffer_store_dword v125, off, s[52:55], 0 offset:344 ; 4-byte Folded Spill
	s_nop 0
	buffer_store_dword v126, off, s[52:55], 0 offset:348 ; 4-byte Folded Spill
	buffer_store_dword v127, off, s[52:55], 0 offset:352 ; 4-byte Folded Spill
	buffer_store_dword v128, off, s[52:55], 0 offset:356 ; 4-byte Folded Spill
	;; [unrolled: 6-line block ×3, first 2 shown]
	s_waitcnt vmcnt(35)
	v_mul_f64 v[34:35], v[56:57], v[107:108]
	s_waitcnt vmcnt(34)
	v_mul_f64 v[38:39], v[60:61], v[87:88]
	;; [unrolled: 2-line block ×3, first 2 shown]
	v_mul_f64 v[28:29], v[46:47], v[131:132]
	v_fma_f64 v[26:27], v[46:47], v[129:130], v[26:27]
	buffer_store_dword v129, off, s[52:55], 0 offset:360 ; 4-byte Folded Spill
	s_nop 0
	buffer_store_dword v130, off, s[52:55], 0 offset:364 ; 4-byte Folded Spill
	buffer_store_dword v131, off, s[52:55], 0 offset:368 ; 4-byte Folded Spill
	;; [unrolled: 1-line block ×3, first 2 shown]
	v_mul_f64 v[32:33], v[50:51], v[103:104]
	v_fma_f64 v[30:31], v[50:51], v[101:102], v[30:31]
	buffer_store_dword v101, off, s[52:55], 0 offset:248 ; 4-byte Folded Spill
	s_nop 0
	buffer_store_dword v102, off, s[52:55], 0 offset:252 ; 4-byte Folded Spill
	buffer_store_dword v103, off, s[52:55], 0 offset:256 ; 4-byte Folded Spill
	;; [unrolled: 1-line block ×3, first 2 shown]
	v_fma_f64 v[34:35], v[54:55], v[105:106], v[34:35]
	v_fma_f64 v[38:39], v[58:59], v[85:86], v[38:39]
	;; [unrolled: 1-line block ×3, first 2 shown]
	v_fma_f64 v[16:17], v[36:37], v[93:94], -v[16:17]
	v_mul_f64 v[36:37], v[54:55], v[107:108]
	buffer_store_dword v105, off, s[52:55], 0 offset:264 ; 4-byte Folded Spill
	s_nop 0
	buffer_store_dword v106, off, s[52:55], 0 offset:268 ; 4-byte Folded Spill
	buffer_store_dword v107, off, s[52:55], 0 offset:272 ; 4-byte Folded Spill
	buffer_store_dword v108, off, s[52:55], 0 offset:276 ; 4-byte Folded Spill
	v_fma_f64 v[20:21], v[40:41], v[125:126], -v[20:21]
	v_mul_f64 v[40:41], v[58:59], v[87:88]
	buffer_store_dword v85, off, s[52:55], 0 offset:184 ; 4-byte Folded Spill
	s_nop 0
	buffer_store_dword v86, off, s[52:55], 0 offset:188 ; 4-byte Folded Spill
	buffer_store_dword v87, off, s[52:55], 0 offset:192 ; 4-byte Folded Spill
	buffer_store_dword v88, off, s[52:55], 0 offset:196 ; 4-byte Folded Spill
	;; [unrolled: 7-line block ×3, first 2 shown]
	v_fma_f64 v[28:29], v[48:49], v[129:130], -v[28:29]
	v_fma_f64 v[32:33], v[52:53], v[101:102], -v[32:33]
	;; [unrolled: 1-line block ×5, first 2 shown]
	ds_write_b128 v80, v[14:17] offset:10800
	ds_write_b128 v80, v[18:21] offset:12960
	;; [unrolled: 1-line block ×8, first 2 shown]
	s_and_saveexec_b64 s[18:19], vcc
	s_cbranch_execz .LBB0_3
; %bb.2:
	v_mov_b32_e32 v14, 0xffffa210
	v_mad_u64_u32 v[16:17], s[2:3], s12, v14, v[12:13]
	s_mul_i32 s2, s13, 0xffffa210
	s_sub_i32 s2, s2, s12
	v_add_u32_e32 v17, s2, v17
	v_mov_b32_e32 v81, s17
	v_add_co_u32_e64 v28, s[2:3], s16, v16
	v_addc_co_u32_e64 v29, s[2:3], v17, v81, s[2:3]
	v_add_co_u32_e64 v32, s[2:3], s16, v28
	v_addc_co_u32_e64 v33, s[2:3], v29, v81, s[2:3]
	v_add_co_u32_e64 v44, s[2:3], s16, v32
	global_load_dwordx4 v[12:15], v[16:17], off
	v_addc_co_u32_e64 v45, s[2:3], v33, v81, s[2:3]
	global_load_dwordx4 v[16:19], v[28:29], off
	global_load_dwordx4 v[20:23], v[64:65], off offset:1872
	global_load_dwordx4 v[24:27], v[64:65], off offset:4032
	s_waitcnt vmcnt(0)
	v_mul_f64 v[110:111], v[18:19], v[26:27]
	global_load_dwordx4 v[28:31], v[32:33], off
	s_nop 0
	global_load_dwordx4 v[32:35], v[44:45], off
	global_load_dwordx4 v[36:39], v[0:1], off offset:2096
	global_load_dwordx4 v[40:43], v[2:3], off offset:160
	v_add_co_u32_e64 v0, s[2:3], s16, v44
	v_addc_co_u32_e64 v1, s[2:3], v45, v81, s[2:3]
	global_load_dwordx4 v[44:47], v[0:1], off
	v_add_co_u32_e64 v0, s[2:3], s16, v0
	v_addc_co_u32_e64 v1, s[2:3], v1, v81, s[2:3]
	global_load_dwordx4 v[48:51], v[0:1], off
	global_load_dwordx4 v[52:55], v[2:3], off offset:2320
	global_load_dwordx4 v[56:59], v[4:5], off offset:384
	v_add_co_u32_e64 v60, s[2:3], s16, v0
	v_addc_co_u32_e64 v61, s[2:3], v1, v81, s[2:3]
	v_add_co_u32_e64 v74, s[2:3], s16, v60
	v_addc_co_u32_e64 v75, s[2:3], v61, v81, s[2:3]
	global_load_dwordx4 v[0:3], v[60:61], off
	s_nop 0
	global_load_dwordx4 v[60:63], v[74:75], off
	global_load_dwordx4 v[66:69], v[4:5], off offset:2544
                                        ; kill: killed $vgpr4 killed $vgpr5
	global_load_dwordx4 v[70:73], v[6:7], off offset:608
	v_add_co_u32_e64 v4, s[2:3], s16, v74
	v_addc_co_u32_e64 v5, s[2:3], v75, v81, s[2:3]
	v_add_co_u32_e64 v78, s[2:3], s16, v4
	global_load_dwordx4 v[74:77], v[4:5], off
	v_addc_co_u32_e64 v79, s[2:3], v5, v81, s[2:3]
	global_load_dwordx4 v[82:85], v[78:79], off
	s_nop 0
	global_load_dwordx4 v[4:7], v[6:7], off offset:2768
	s_nop 0
	global_load_dwordx4 v[86:89], v[8:9], off offset:832
	v_add_co_u32_e64 v78, s[2:3], s16, v78
	v_addc_co_u32_e64 v79, s[2:3], v79, v81, s[2:3]
	global_load_dwordx4 v[90:93], v[78:79], off
	v_add_co_u32_e64 v78, s[2:3], s16, v78
	v_addc_co_u32_e64 v79, s[2:3], v79, v81, s[2:3]
	global_load_dwordx4 v[94:97], v[78:79], off
	global_load_dwordx4 v[98:101], v[8:9], off offset:2992
	global_load_dwordx4 v[102:105], v[10:11], off offset:1056
	v_add_co_u32_e64 v78, s[2:3], s16, v78
	v_addc_co_u32_e64 v79, s[2:3], v79, v81, s[2:3]
	global_load_dwordx4 v[8:11], v[10:11], off offset:3216
	s_nop 0
	global_load_dwordx4 v[106:109], v[78:79], off
	v_mul_f64 v[78:79], v[14:15], v[22:23]
	v_mul_f64 v[22:23], v[12:13], v[22:23]
	;; [unrolled: 1-line block ×3, first 2 shown]
	v_fma_f64 v[16:17], v[16:17], v[24:25], v[110:111]
	v_fma_f64 v[12:13], v[12:13], v[20:21], v[78:79]
	v_fma_f64 v[14:15], v[14:15], v[20:21], -v[22:23]
	v_fma_f64 v[18:19], v[18:19], v[24:25], -v[26:27]
	s_waitcnt vmcnt(19)
	v_mul_f64 v[112:113], v[30:31], v[38:39]
	v_mul_f64 v[38:39], v[28:29], v[38:39]
	s_waitcnt vmcnt(18)
	v_mul_f64 v[114:115], v[34:35], v[42:43]
	v_mul_f64 v[42:43], v[32:33], v[42:43]
	v_fma_f64 v[20:21], v[28:29], v[36:37], v[112:113]
	v_fma_f64 v[22:23], v[30:31], v[36:37], -v[38:39]
	s_waitcnt vmcnt(15)
	v_mul_f64 v[116:117], v[46:47], v[54:55]
	v_mul_f64 v[54:55], v[44:45], v[54:55]
	v_fma_f64 v[24:25], v[32:33], v[40:41], v[114:115]
	v_fma_f64 v[26:27], v[34:35], v[40:41], -v[42:43]
	s_waitcnt vmcnt(14)
	v_mul_f64 v[32:33], v[50:51], v[58:59]
	v_fma_f64 v[28:29], v[44:45], v[52:53], v[116:117]
	v_fma_f64 v[30:31], v[46:47], v[52:53], -v[54:55]
	ds_write_b128 v80, v[12:15] offset:1872
	ds_write_b128 v80, v[16:19] offset:4032
	;; [unrolled: 1-line block ×5, first 2 shown]
	s_waitcnt vmcnt(11)
	v_mul_f64 v[16:17], v[2:3], v[68:69]
	v_mul_f64 v[18:19], v[0:1], v[68:69]
	s_waitcnt vmcnt(10)
	v_mul_f64 v[20:21], v[62:63], v[72:73]
	v_mul_f64 v[22:23], v[60:61], v[72:73]
	;; [unrolled: 1-line block ×3, first 2 shown]
	v_fma_f64 v[12:13], v[48:49], v[56:57], v[32:33]
	s_waitcnt vmcnt(7)
	v_mul_f64 v[24:25], v[76:77], v[6:7]
	v_mul_f64 v[6:7], v[74:75], v[6:7]
	v_fma_f64 v[0:1], v[0:1], v[66:67], v[16:17]
	v_fma_f64 v[2:3], v[2:3], v[66:67], -v[18:19]
	v_fma_f64 v[16:17], v[60:61], v[70:71], v[20:21]
	v_fma_f64 v[18:19], v[62:63], v[70:71], -v[22:23]
	v_fma_f64 v[14:15], v[50:51], v[56:57], -v[14:15]
	v_fma_f64 v[20:21], v[74:75], v[4:5], v[24:25]
	v_fma_f64 v[22:23], v[76:77], v[4:5], -v[6:7]
	s_waitcnt vmcnt(6)
	v_mul_f64 v[4:5], v[84:85], v[88:89]
	v_mul_f64 v[6:7], v[82:83], v[88:89]
	s_waitcnt vmcnt(3)
	v_mul_f64 v[24:25], v[92:93], v[100:101]
	v_mul_f64 v[26:27], v[90:91], v[100:101]
	;; [unrolled: 3-line block ×4, first 2 shown]
	v_fma_f64 v[4:5], v[82:83], v[86:87], v[4:5]
	v_fma_f64 v[6:7], v[84:85], v[86:87], -v[6:7]
	v_fma_f64 v[24:25], v[90:91], v[98:99], v[24:25]
	v_fma_f64 v[26:27], v[92:93], v[98:99], -v[26:27]
	;; [unrolled: 2-line block ×4, first 2 shown]
	ds_write_b128 v80, v[12:15] offset:12672
	ds_write_b128 v80, v[0:3] offset:14832
	;; [unrolled: 1-line block ×8, first 2 shown]
.LBB0_3:
	s_or_b64 exec, exec, s[18:19]
	s_waitcnt vmcnt(0) lgkmcnt(0)
	s_barrier
	ds_read_b128 v[48:51], v80
	ds_read_b128 v[52:55], v80 offset:2160
	ds_read_b128 v[40:43], v80 offset:4320
	;; [unrolled: 1-line block ×12, first 2 shown]
	s_load_dwordx2 s[4:5], s[4:5], 0x8
                                        ; implicit-def: $vgpr0_vgpr1
                                        ; implicit-def: $vgpr4_vgpr5
                                        ; implicit-def: $vgpr96_vgpr97
                                        ; implicit-def: $vgpr100_vgpr101
                                        ; implicit-def: $vgpr104_vgpr105
                                        ; implicit-def: $vgpr112_vgpr113
                                        ; implicit-def: $vgpr116_vgpr117
                                        ; implicit-def: $vgpr120_vgpr121
                                        ; implicit-def: $vgpr124_vgpr125
                                        ; implicit-def: $vgpr128_vgpr129
                                        ; implicit-def: $vgpr132_vgpr133
                                        ; implicit-def: $vgpr136_vgpr137
                                        ; implicit-def: $vgpr108_vgpr109
	s_and_saveexec_b64 s[2:3], vcc
	s_cbranch_execz .LBB0_5
; %bb.4:
	ds_read_b128 v[0:3], v80 offset:1872
	ds_read_b128 v[4:7], v80 offset:4032
	;; [unrolled: 1-line block ×13, first 2 shown]
.LBB0_5:
	s_or_b64 exec, exec, s[2:3]
	s_waitcnt lgkmcnt(0)
	v_add_f64 v[62:63], v[50:51], v[54:55]
	v_add_f64 v[60:61], v[48:49], v[52:53]
	s_mov_b32 s44, 0x4267c47c
	s_mov_b32 s28, 0x42a4c3d2
	;; [unrolled: 1-line block ×6, first 2 shown]
	v_add_f64 v[62:63], v[62:63], v[42:43]
	v_add_f64 v[60:61], v[60:61], v[40:41]
	s_mov_b32 s45, 0xbfddbe06
	s_mov_b32 s29, 0xbfea55e2
	;; [unrolled: 1-line block ×6, first 2 shown]
	v_add_f64 v[62:63], v[62:63], v[34:35]
	v_add_f64 v[60:61], v[60:61], v[32:33]
	s_movk_i32 s14, 0x75
	v_add_co_u32_e64 v224, s[2:3], s14, v220
	s_mov_b32 s2, 0xe00740e9
	s_mov_b32 s12, 0x1ea71119
	s_mov_b32 s16, 0xebaa3ed8
	v_add_f64 v[62:63], v[62:63], v[26:27]
	v_add_f64 v[60:61], v[60:61], v[24:25]
	s_mov_b32 s18, 0xb2365da1
	s_mov_b32 s20, 0xd0032e0c
	s_mov_b32 s22, 0x93053d00
	s_mov_b32 s3, 0x3fec55a7
	s_mov_b32 s13, 0x3fe22d96
	s_mov_b32 s17, 0x3fbedb7d
	v_add_f64 v[62:63], v[62:63], v[18:19]
	v_add_f64 v[60:61], v[60:61], v[16:17]
	s_mov_b32 s19, 0xbfd6b1d8
	s_mov_b32 s21, 0xbfe7f3cc
	s_mov_b32 s23, 0xbfef11f4
	;; [unrolled: 8-line block ×4, first 2 shown]
	v_add_f64 v[62:63], v[62:63], v[22:23]
	v_add_f64 v[60:61], v[60:61], v[20:21]
	;; [unrolled: 1-line block ×10, first 2 shown]
	v_add_f64 v[54:55], v[54:55], -v[58:59]
	v_add_f64 v[140:141], v[60:61], v[56:57]
	v_add_f64 v[60:61], v[52:53], v[56:57]
	v_add_f64 v[52:53], v[52:53], -v[56:57]
	v_mul_f64 v[56:57], v[54:55], s[44:45]
	v_mul_f64 v[70:71], v[54:55], s[28:29]
	;; [unrolled: 1-line block ×8, first 2 shown]
	v_fma_f64 v[58:59], v[60:61], s[2:3], -v[56:57]
	v_fma_f64 v[56:57], v[60:61], s[2:3], v[56:57]
	v_fma_f64 v[72:73], v[60:61], s[12:13], -v[70:71]
	v_fma_f64 v[70:71], v[60:61], s[12:13], v[70:71]
	v_fma_f64 v[81:82], v[60:61], s[16:17], -v[78:79]
	v_mul_f64 v[83:84], v[52:53], s[36:37]
	v_fma_f64 v[78:79], v[60:61], s[16:17], v[78:79]
	v_fma_f64 v[89:90], v[60:61], s[18:19], -v[87:88]
	v_mul_f64 v[91:92], v[52:53], s[24:25]
	;; [unrolled: 3-line block ×4, first 2 shown]
	v_fma_f64 v[54:55], v[60:61], s[22:23], v[54:55]
	v_add_f64 v[58:59], v[48:49], v[58:59]
	v_fma_f64 v[68:69], v[62:63], s[2:3], v[66:67]
	v_add_f64 v[56:57], v[48:49], v[56:57]
	v_fma_f64 v[66:67], v[62:63], s[2:3], -v[66:67]
	v_add_f64 v[72:73], v[48:49], v[72:73]
	v_fma_f64 v[76:77], v[62:63], s[12:13], v[74:75]
	v_add_f64 v[70:71], v[48:49], v[70:71]
	v_fma_f64 v[74:75], v[62:63], s[12:13], -v[74:75]
	;; [unrolled: 4-line block ×6, first 2 shown]
	v_add_f64 v[54:55], v[42:43], v[46:47]
	v_add_f64 v[42:43], v[42:43], -v[46:47]
	v_add_f64 v[68:69], v[50:51], v[68:69]
	v_add_f64 v[66:67], v[50:51], v[66:67]
	;; [unrolled: 1-line block ×13, first 2 shown]
	v_add_f64 v[40:41], v[40:41], -v[44:45]
	v_mul_f64 v[44:45], v[42:43], s[28:29]
	v_fma_f64 v[46:47], v[52:53], s[12:13], -v[44:45]
	v_fma_f64 v[44:45], v[52:53], s[12:13], v[44:45]
	v_add_f64 v[46:47], v[46:47], v[58:59]
	v_mul_f64 v[58:59], v[40:41], s[28:29]
	v_add_f64 v[44:45], v[44:45], v[56:57]
	v_fma_f64 v[60:61], v[54:55], s[12:13], v[58:59]
	v_fma_f64 v[56:57], v[54:55], s[12:13], -v[58:59]
	v_mul_f64 v[58:59], v[42:43], s[24:25]
	v_add_f64 v[60:61], v[60:61], v[68:69]
	v_add_f64 v[56:57], v[56:57], v[66:67]
	v_fma_f64 v[62:63], v[52:53], s[18:19], -v[58:59]
	v_mul_f64 v[66:67], v[40:41], s[24:25]
	v_fma_f64 v[58:59], v[52:53], s[18:19], v[58:59]
	v_add_f64 v[62:63], v[62:63], v[72:73]
	v_fma_f64 v[68:69], v[54:55], s[18:19], v[66:67]
	v_add_f64 v[58:59], v[58:59], v[70:71]
	v_fma_f64 v[66:67], v[54:55], s[18:19], -v[66:67]
	v_mul_f64 v[70:71], v[42:43], s[30:31]
	v_add_f64 v[68:69], v[68:69], v[76:77]
	v_add_f64 v[66:67], v[66:67], v[74:75]
	v_fma_f64 v[72:73], v[52:53], s[22:23], -v[70:71]
	v_mul_f64 v[74:75], v[40:41], s[30:31]
	v_fma_f64 v[70:71], v[52:53], s[22:23], v[70:71]
	v_add_f64 v[72:73], v[72:73], v[81:82]
	v_fma_f64 v[76:77], v[54:55], s[22:23], v[74:75]
	v_add_f64 v[70:71], v[70:71], v[78:79]
	;; [unrolled: 10-line block ×3, first 2 shown]
	v_fma_f64 v[83:84], v[54:55], s[20:21], -v[83:84]
	v_mul_f64 v[87:88], v[42:43], s[34:35]
	v_mul_f64 v[42:43], v[42:43], s[38:39]
	v_add_f64 v[85:86], v[85:86], v[93:94]
	v_add_f64 v[83:84], v[83:84], v[91:92]
	v_fma_f64 v[89:90], v[52:53], s[16:17], -v[87:88]
	v_mul_f64 v[91:92], v[40:41], s[34:35]
	v_mul_f64 v[40:41], v[40:41], s[38:39]
	v_fma_f64 v[87:88], v[52:53], s[16:17], v[87:88]
	v_add_f64 v[89:90], v[89:90], v[146:147]
	v_fma_f64 v[93:94], v[54:55], s[16:17], v[91:92]
	v_fma_f64 v[146:147], v[54:55], s[2:3], v[40:41]
	v_fma_f64 v[40:41], v[54:55], s[2:3], -v[40:41]
	v_add_f64 v[87:88], v[87:88], v[144:145]
	v_fma_f64 v[144:145], v[52:53], s[2:3], -v[42:43]
	v_fma_f64 v[42:43], v[52:53], s[2:3], v[42:43]
	v_fma_f64 v[91:92], v[54:55], s[16:17], -v[91:92]
	v_add_f64 v[93:94], v[93:94], v[150:151]
	v_add_f64 v[146:147], v[146:147], v[154:155]
	;; [unrolled: 1-line block ×4, first 2 shown]
	v_add_f64 v[34:35], v[34:35], -v[38:39]
	v_add_f64 v[42:43], v[42:43], v[48:49]
	v_add_f64 v[48:49], v[32:33], v[36:37]
	v_add_f64 v[32:33], v[32:33], -v[36:37]
	v_add_f64 v[91:92], v[91:92], v[148:149]
	v_add_f64 v[144:145], v[144:145], v[152:153]
	v_mul_f64 v[36:37], v[34:35], s[36:37]
	v_fma_f64 v[38:39], v[48:49], s[16:17], -v[36:37]
	v_fma_f64 v[36:37], v[48:49], s[16:17], v[36:37]
	v_add_f64 v[38:39], v[38:39], v[46:47]
	v_mul_f64 v[46:47], v[32:33], s[36:37]
	v_add_f64 v[36:37], v[36:37], v[44:45]
	v_fma_f64 v[52:53], v[50:51], s[16:17], v[46:47]
	v_fma_f64 v[44:45], v[50:51], s[16:17], -v[46:47]
	v_mul_f64 v[46:47], v[34:35], s[30:31]
	v_add_f64 v[52:53], v[52:53], v[60:61]
	v_add_f64 v[44:45], v[44:45], v[56:57]
	v_fma_f64 v[54:55], v[48:49], s[22:23], -v[46:47]
	v_fma_f64 v[46:47], v[48:49], s[22:23], v[46:47]
	v_mul_f64 v[56:57], v[32:33], s[30:31]
	v_add_f64 v[54:55], v[54:55], v[62:63]
	v_add_f64 v[46:47], v[46:47], v[58:59]
	v_mul_f64 v[58:59], v[34:35], s[48:49]
	v_fma_f64 v[60:61], v[50:51], s[22:23], v[56:57]
	v_fma_f64 v[56:57], v[50:51], s[22:23], -v[56:57]
	v_fma_f64 v[62:63], v[48:49], s[18:19], -v[58:59]
	v_fma_f64 v[58:59], v[48:49], s[18:19], v[58:59]
	v_add_f64 v[56:57], v[56:57], v[66:67]
	v_mul_f64 v[66:67], v[32:33], s[48:49]
	v_add_f64 v[60:61], v[60:61], v[68:69]
	v_add_f64 v[62:63], v[62:63], v[72:73]
	;; [unrolled: 1-line block ×3, first 2 shown]
	v_mul_f64 v[70:71], v[34:35], s[38:39]
	v_fma_f64 v[68:69], v[50:51], s[18:19], v[66:67]
	v_fma_f64 v[66:67], v[50:51], s[18:19], -v[66:67]
	v_fma_f64 v[72:73], v[48:49], s[2:3], -v[70:71]
	v_fma_f64 v[70:71], v[48:49], s[2:3], v[70:71]
	v_add_f64 v[66:67], v[66:67], v[74:75]
	v_mul_f64 v[74:75], v[32:33], s[38:39]
	v_add_f64 v[68:69], v[68:69], v[76:77]
	v_add_f64 v[72:73], v[72:73], v[81:82]
	;; [unrolled: 1-line block ×3, first 2 shown]
	v_mul_f64 v[78:79], v[34:35], s[28:29]
	v_fma_f64 v[76:77], v[50:51], s[2:3], v[74:75]
	v_fma_f64 v[74:75], v[50:51], s[2:3], -v[74:75]
	v_mul_f64 v[34:35], v[34:35], s[26:27]
	v_fma_f64 v[81:82], v[48:49], s[12:13], -v[78:79]
	v_fma_f64 v[78:79], v[48:49], s[12:13], v[78:79]
	v_add_f64 v[74:75], v[74:75], v[83:84]
	v_mul_f64 v[83:84], v[32:33], s[28:29]
	v_mul_f64 v[32:33], v[32:33], s[26:27]
	v_add_f64 v[76:77], v[76:77], v[85:86]
	v_add_f64 v[81:82], v[81:82], v[89:90]
	;; [unrolled: 1-line block ×3, first 2 shown]
	v_fma_f64 v[87:88], v[48:49], s[20:21], -v[34:35]
	v_fma_f64 v[34:35], v[48:49], s[20:21], v[34:35]
	v_fma_f64 v[89:90], v[50:51], s[20:21], v[32:33]
	v_fma_f64 v[32:33], v[50:51], s[20:21], -v[32:33]
	v_fma_f64 v[85:86], v[50:51], s[12:13], v[83:84]
	v_fma_f64 v[83:84], v[50:51], s[12:13], -v[83:84]
	v_add_f64 v[87:88], v[87:88], v[144:145]
	v_add_f64 v[34:35], v[34:35], v[42:43]
	;; [unrolled: 1-line block ×3, first 2 shown]
	v_add_f64 v[26:27], v[26:27], -v[30:31]
	v_add_f64 v[32:33], v[32:33], v[40:41]
	v_add_f64 v[40:41], v[24:25], v[28:29]
	v_add_f64 v[24:25], v[24:25], -v[28:29]
	v_add_f64 v[89:90], v[89:90], v[146:147]
	v_add_f64 v[83:84], v[83:84], v[91:92]
	;; [unrolled: 1-line block ×3, first 2 shown]
	v_add_f64 v[93:94], v[98:99], -v[138:139]
	v_mul_f64 v[28:29], v[26:27], s[24:25]
	v_add_f64 v[91:92], v[96:97], -v[136:137]
	v_mul_f64 v[50:51], v[24:25], s[40:41]
	v_fma_f64 v[30:31], v[40:41], s[18:19], -v[28:29]
	v_fma_f64 v[28:29], v[40:41], s[18:19], v[28:29]
	v_add_f64 v[30:31], v[30:31], v[38:39]
	v_mul_f64 v[38:39], v[24:25], s[24:25]
	v_add_f64 v[28:29], v[28:29], v[36:37]
	v_fma_f64 v[48:49], v[42:43], s[18:19], v[38:39]
	v_fma_f64 v[36:37], v[42:43], s[18:19], -v[38:39]
	v_mul_f64 v[38:39], v[26:27], s[40:41]
	v_add_f64 v[48:49], v[48:49], v[52:53]
	v_add_f64 v[36:37], v[36:37], v[44:45]
	v_fma_f64 v[44:45], v[40:41], s[20:21], -v[38:39]
	v_fma_f64 v[38:39], v[40:41], s[20:21], v[38:39]
	v_fma_f64 v[52:53], v[42:43], s[20:21], v[50:51]
	v_add_f64 v[44:45], v[44:45], v[54:55]
	v_add_f64 v[38:39], v[38:39], v[46:47]
	v_fma_f64 v[46:47], v[42:43], s[20:21], -v[50:51]
	v_mul_f64 v[50:51], v[26:27], s[38:39]
	v_add_f64 v[52:53], v[52:53], v[60:61]
	v_add_f64 v[46:47], v[46:47], v[56:57]
	v_fma_f64 v[54:55], v[40:41], s[2:3], -v[50:51]
	v_fma_f64 v[50:51], v[40:41], s[2:3], v[50:51]
	v_mul_f64 v[56:57], v[24:25], s[38:39]
	v_add_f64 v[54:55], v[54:55], v[62:63]
	v_add_f64 v[50:51], v[50:51], v[58:59]
	v_mul_f64 v[58:59], v[26:27], s[36:37]
	v_fma_f64 v[60:61], v[42:43], s[2:3], v[56:57]
	v_fma_f64 v[56:57], v[42:43], s[2:3], -v[56:57]
	v_fma_f64 v[62:63], v[40:41], s[16:17], -v[58:59]
	v_fma_f64 v[58:59], v[40:41], s[16:17], v[58:59]
	v_add_f64 v[56:57], v[56:57], v[66:67]
	v_mul_f64 v[66:67], v[24:25], s[36:37]
	v_add_f64 v[60:61], v[60:61], v[68:69]
	v_add_f64 v[62:63], v[62:63], v[72:73]
	;; [unrolled: 1-line block ×3, first 2 shown]
	v_mul_f64 v[70:71], v[26:27], s[46:47]
	v_fma_f64 v[68:69], v[42:43], s[16:17], v[66:67]
	v_fma_f64 v[66:67], v[42:43], s[16:17], -v[66:67]
	v_mul_f64 v[26:27], v[26:27], s[42:43]
	v_fma_f64 v[72:73], v[40:41], s[22:23], -v[70:71]
	v_fma_f64 v[70:71], v[40:41], s[22:23], v[70:71]
	v_add_f64 v[66:67], v[66:67], v[74:75]
	v_mul_f64 v[74:75], v[24:25], s[46:47]
	v_mul_f64 v[24:25], v[24:25], s[42:43]
	v_add_f64 v[68:69], v[68:69], v[76:77]
	v_add_f64 v[72:73], v[72:73], v[81:82]
	;; [unrolled: 1-line block ×3, first 2 shown]
	v_fma_f64 v[78:79], v[40:41], s[12:13], -v[26:27]
	v_fma_f64 v[26:27], v[40:41], s[12:13], v[26:27]
	v_fma_f64 v[81:82], v[42:43], s[12:13], v[24:25]
	v_fma_f64 v[24:25], v[42:43], s[12:13], -v[24:25]
	v_fma_f64 v[76:77], v[42:43], s[22:23], v[74:75]
	v_fma_f64 v[74:75], v[42:43], s[22:23], -v[74:75]
	v_add_f64 v[78:79], v[78:79], v[87:88]
	v_add_f64 v[26:27], v[26:27], v[34:35]
	;; [unrolled: 1-line block ×3, first 2 shown]
	v_add_f64 v[18:19], v[18:19], -v[22:23]
	v_add_f64 v[24:25], v[24:25], v[32:33]
	v_add_f64 v[32:33], v[16:17], v[20:21]
	v_add_f64 v[16:17], v[16:17], -v[20:21]
	v_add_f64 v[81:82], v[81:82], v[89:90]
	v_add_f64 v[74:75], v[74:75], v[83:84]
	;; [unrolled: 1-line block ×3, first 2 shown]
	v_mul_f64 v[20:21], v[18:19], s[26:27]
	v_mul_f64 v[42:43], v[16:17], s[34:35]
	v_fma_f64 v[22:23], v[32:33], s[20:21], -v[20:21]
	v_fma_f64 v[20:21], v[32:33], s[20:21], v[20:21]
	v_add_f64 v[22:23], v[22:23], v[30:31]
	v_mul_f64 v[30:31], v[16:17], s[26:27]
	v_add_f64 v[20:21], v[20:21], v[28:29]
	v_fma_f64 v[40:41], v[34:35], s[20:21], v[30:31]
	v_fma_f64 v[28:29], v[34:35], s[20:21], -v[30:31]
	v_mul_f64 v[30:31], v[18:19], s[34:35]
	v_add_f64 v[40:41], v[40:41], v[48:49]
	v_add_f64 v[28:29], v[28:29], v[36:37]
	v_fma_f64 v[36:37], v[32:33], s[16:17], -v[30:31]
	v_fma_f64 v[30:31], v[32:33], s[16:17], v[30:31]
	v_mul_f64 v[48:49], v[16:17], s[28:29]
	v_add_f64 v[36:37], v[36:37], v[44:45]
	v_fma_f64 v[44:45], v[34:35], s[16:17], v[42:43]
	v_add_f64 v[30:31], v[30:31], v[38:39]
	v_fma_f64 v[38:39], v[34:35], s[16:17], -v[42:43]
	v_mul_f64 v[42:43], v[18:19], s[28:29]
	v_add_f64 v[44:45], v[44:45], v[52:53]
	v_fma_f64 v[52:53], v[34:35], s[12:13], v[48:49]
	v_add_f64 v[38:39], v[38:39], v[46:47]
	v_fma_f64 v[46:47], v[32:33], s[12:13], -v[42:43]
	v_fma_f64 v[42:43], v[32:33], s[12:13], v[42:43]
	v_fma_f64 v[48:49], v[34:35], s[12:13], -v[48:49]
	v_add_f64 v[52:53], v[52:53], v[60:61]
	v_add_f64 v[46:47], v[46:47], v[54:55]
	;; [unrolled: 1-line block ×3, first 2 shown]
	v_mul_f64 v[50:51], v[18:19], s[46:47]
	v_add_f64 v[48:49], v[48:49], v[56:57]
	v_mul_f64 v[56:57], v[16:17], s[46:47]
	v_fma_f64 v[54:55], v[32:33], s[22:23], -v[50:51]
	v_fma_f64 v[50:51], v[32:33], s[22:23], v[50:51]
	v_fma_f64 v[60:61], v[34:35], s[22:23], v[56:57]
	v_fma_f64 v[56:57], v[34:35], s[22:23], -v[56:57]
	v_add_f64 v[54:55], v[54:55], v[62:63]
	v_add_f64 v[50:51], v[50:51], v[58:59]
	v_mul_f64 v[58:59], v[18:19], s[38:39]
	v_add_f64 v[56:57], v[56:57], v[66:67]
	v_mul_f64 v[66:67], v[16:17], s[38:39]
	v_mul_f64 v[16:17], v[16:17], s[24:25]
	;; [unrolled: 1-line block ×3, first 2 shown]
	v_add_f64 v[60:61], v[60:61], v[68:69]
	v_fma_f64 v[62:63], v[32:33], s[2:3], -v[58:59]
	v_fma_f64 v[58:59], v[32:33], s[2:3], v[58:59]
	v_fma_f64 v[68:69], v[34:35], s[2:3], v[66:67]
	v_fma_f64 v[66:67], v[34:35], s[2:3], -v[66:67]
	v_add_f64 v[62:63], v[62:63], v[72:73]
	v_fma_f64 v[72:73], v[34:35], s[18:19], v[16:17]
	v_add_f64 v[58:59], v[58:59], v[70:71]
	v_fma_f64 v[70:71], v[32:33], s[18:19], -v[18:19]
	v_add_f64 v[66:67], v[66:67], v[74:75]
	v_add_f64 v[74:75], v[8:9], v[12:13]
	;; [unrolled: 1-line block ×4, first 2 shown]
	v_fma_f64 v[16:17], v[34:35], s[18:19], -v[16:17]
	v_add_f64 v[72:73], v[72:73], v[81:82]
	v_add_f64 v[81:82], v[10:11], -v[14:15]
	v_add_f64 v[70:71], v[70:71], v[78:79]
	v_add_f64 v[78:79], v[8:9], -v[12:13]
	v_fma_f64 v[18:19], v[32:33], s[18:19], v[18:19]
	v_add_f64 v[34:35], v[16:17], v[24:25]
	v_mul_f64 v[8:9], v[81:82], s[30:31]
	v_mul_f64 v[16:17], v[81:82], s[38:39]
	v_add_f64 v[32:33], v[18:19], v[26:27]
	v_fma_f64 v[10:11], v[74:75], s[22:23], -v[8:9]
	v_fma_f64 v[18:19], v[74:75], s[2:3], -v[16:17]
	v_fma_f64 v[16:17], v[74:75], s[2:3], v[16:17]
	v_fma_f64 v[8:9], v[74:75], s[22:23], v[8:9]
	v_add_f64 v[12:13], v[10:11], v[22:23]
	v_mul_f64 v[10:11], v[78:79], s[30:31]
	v_add_f64 v[16:17], v[16:17], v[30:31]
	v_add_f64 v[144:145], v[18:19], v[36:37]
	v_mul_f64 v[18:19], v[78:79], s[38:39]
	v_add_f64 v[8:9], v[8:9], v[20:21]
	v_fma_f64 v[14:15], v[76:77], s[22:23], v[10:11]
	v_fma_f64 v[10:11], v[76:77], s[22:23], -v[10:11]
	v_fma_f64 v[20:21], v[76:77], s[2:3], v[18:19]
	v_fma_f64 v[18:19], v[76:77], s[2:3], -v[18:19]
	v_add_f64 v[14:15], v[14:15], v[40:41]
	v_add_f64 v[10:11], v[10:11], v[28:29]
	v_mul_f64 v[28:29], v[81:82], s[42:43]
	v_add_f64 v[146:147], v[20:21], v[44:45]
	v_add_f64 v[18:19], v[18:19], v[38:39]
	v_add_f64 v[38:39], v[6:7], -v[110:111]
	v_mul_f64 v[20:21], v[81:82], s[26:27]
	v_fma_f64 v[30:31], v[74:75], s[12:13], -v[28:29]
	v_fma_f64 v[28:29], v[74:75], s[12:13], v[28:29]
	v_fma_f64 v[22:23], v[74:75], s[20:21], -v[20:21]
	v_fma_f64 v[20:21], v[74:75], s[20:21], v[20:21]
	v_add_f64 v[152:153], v[30:31], v[54:55]
	v_mul_f64 v[30:31], v[78:79], s[42:43]
	v_add_f64 v[148:149], v[28:29], v[50:51]
	v_add_f64 v[24:25], v[22:23], v[46:47]
	v_mul_f64 v[22:23], v[78:79], s[26:27]
	v_add_f64 v[20:21], v[20:21], v[42:43]
	v_fma_f64 v[28:29], v[76:77], s[12:13], -v[30:31]
	v_fma_f64 v[36:37], v[76:77], s[12:13], v[30:31]
	v_fma_f64 v[26:27], v[76:77], s[20:21], v[22:23]
	v_fma_f64 v[22:23], v[76:77], s[20:21], -v[22:23]
	v_add_f64 v[150:151], v[28:29], v[56:57]
	v_mul_f64 v[28:29], v[81:82], s[24:25]
	v_add_f64 v[154:155], v[36:37], v[60:61]
	v_add_f64 v[26:27], v[26:27], v[52:53]
	;; [unrolled: 1-line block ×3, first 2 shown]
	v_fma_f64 v[30:31], v[74:75], s[18:19], -v[28:29]
	v_fma_f64 v[28:29], v[74:75], s[18:19], v[28:29]
	v_add_f64 v[156:157], v[30:31], v[62:63]
	v_mul_f64 v[30:31], v[78:79], s[24:25]
	v_add_f64 v[160:161], v[28:29], v[58:59]
	v_fma_f64 v[28:29], v[76:77], s[18:19], -v[30:31]
	v_fma_f64 v[36:37], v[76:77], s[18:19], v[30:31]
	v_add_f64 v[162:163], v[28:29], v[66:67]
	v_mul_f64 v[28:29], v[81:82], s[34:35]
	v_add_f64 v[158:159], v[36:37], v[68:69]
	;; [unrolled: 5-line block ×3, first 2 shown]
	v_mul_f64 v[32:33], v[38:39], s[44:45]
	v_fma_f64 v[36:37], v[76:77], s[16:17], v[30:31]
	v_fma_f64 v[28:29], v[76:77], s[16:17], -v[30:31]
	v_add_f64 v[30:31], v[6:7], v[110:111]
	v_add_f64 v[166:167], v[36:37], v[72:73]
	;; [unrolled: 1-line block ×4, first 2 shown]
	v_add_f64 v[36:37], v[4:5], -v[108:109]
	v_fma_f64 v[40:41], v[28:29], s[2:3], v[32:33]
	v_mul_f64 v[34:35], v[36:37], s[44:45]
	v_add_f64 v[44:45], v[0:1], v[40:41]
	v_fma_f64 v[40:41], v[30:31], s[2:3], -v[34:35]
	v_add_f64 v[46:47], v[2:3], v[40:41]
	v_mul_f64 v[40:41], v[38:39], s[28:29]
	v_fma_f64 v[42:43], v[28:29], s[12:13], -v[40:41]
	v_fma_f64 v[40:41], v[28:29], s[12:13], v[40:41]
	v_add_f64 v[48:49], v[0:1], v[42:43]
	v_mul_f64 v[42:43], v[36:37], s[28:29]
	v_add_f64 v[52:53], v[0:1], v[40:41]
	v_fma_f64 v[40:41], v[30:31], s[12:13], -v[42:43]
	v_fma_f64 v[50:51], v[30:31], s[12:13], v[42:43]
	v_add_f64 v[54:55], v[2:3], v[40:41]
	v_mul_f64 v[40:41], v[38:39], s[36:37]
	v_add_f64 v[50:51], v[2:3], v[50:51]
	;; [unrolled: 5-line block ×5, first 2 shown]
	v_fma_f64 v[40:41], v[30:31], s[18:19], -v[42:43]
	v_fma_f64 v[68:69], v[30:31], s[18:19], v[42:43]
	v_add_f64 v[72:73], v[2:3], v[40:41]
	v_mul_f64 v[40:41], v[38:39], s[26:27]
	v_mul_f64 v[38:39], v[38:39], s[30:31]
	v_add_f64 v[68:69], v[2:3], v[68:69]
	v_fma_f64 v[42:43], v[28:29], s[20:21], -v[40:41]
	v_fma_f64 v[40:41], v[28:29], s[20:21], v[40:41]
	v_add_f64 v[74:75], v[0:1], v[42:43]
	v_mul_f64 v[42:43], v[36:37], s[26:27]
	v_add_f64 v[78:79], v[0:1], v[40:41]
	v_mul_f64 v[36:37], v[36:37], s[30:31]
	v_fma_f64 v[40:41], v[30:31], s[20:21], -v[42:43]
	v_fma_f64 v[76:77], v[30:31], s[20:21], v[42:43]
	v_mul_f64 v[42:43], v[91:92], s[28:29]
	v_add_f64 v[81:82], v[2:3], v[40:41]
	v_fma_f64 v[40:41], v[28:29], s[22:23], -v[38:39]
	v_fma_f64 v[38:39], v[28:29], s[22:23], v[38:39]
	v_add_f64 v[76:77], v[2:3], v[76:77]
	v_add_f64 v[83:84], v[0:1], v[40:41]
	v_fma_f64 v[40:41], v[30:31], s[22:23], v[36:37]
	v_fma_f64 v[36:37], v[30:31], s[22:23], -v[36:37]
	v_add_f64 v[87:88], v[0:1], v[38:39]
	v_add_f64 v[38:39], v[98:99], v[138:139]
	;; [unrolled: 1-line block ×5, first 2 shown]
	v_mul_f64 v[40:41], v[93:94], s[28:29]
	v_fma_f64 v[172:173], v[36:37], s[12:13], v[40:41]
	v_add_f64 v[172:173], v[172:173], v[44:45]
	v_fma_f64 v[44:45], v[38:39], s[12:13], -v[42:43]
	v_add_f64 v[174:175], v[44:45], v[46:47]
	v_mul_f64 v[44:45], v[93:94], s[24:25]
	v_fma_f64 v[46:47], v[36:37], s[18:19], -v[44:45]
	v_fma_f64 v[44:45], v[36:37], s[18:19], v[44:45]
	v_add_f64 v[176:177], v[46:47], v[48:49]
	v_mul_f64 v[46:47], v[91:92], s[24:25]
	v_add_f64 v[52:53], v[44:45], v[52:53]
	v_fma_f64 v[44:45], v[38:39], s[18:19], -v[46:47]
	v_fma_f64 v[48:49], v[38:39], s[18:19], v[46:47]
	v_add_f64 v[54:55], v[44:45], v[54:55]
	v_mul_f64 v[44:45], v[93:94], s[30:31]
	v_add_f64 v[178:179], v[48:49], v[50:51]
	v_fma_f64 v[46:47], v[36:37], s[22:23], -v[44:45]
	v_fma_f64 v[44:45], v[36:37], s[22:23], v[44:45]
	v_add_f64 v[56:57], v[46:47], v[56:57]
	v_mul_f64 v[46:47], v[91:92], s[30:31]
	v_add_f64 v[60:61], v[44:45], v[60:61]
	v_fma_f64 v[44:45], v[38:39], s[22:23], -v[46:47]
	v_fma_f64 v[48:49], v[38:39], s[22:23], v[46:47]
	v_add_f64 v[62:63], v[44:45], v[62:63]
	v_mul_f64 v[44:45], v[93:94], s[40:41]
	v_add_f64 v[58:59], v[48:49], v[58:59]
	v_fma_f64 v[46:47], v[36:37], s[20:21], -v[44:45]
	v_fma_f64 v[44:45], v[36:37], s[20:21], v[44:45]
	v_add_f64 v[66:67], v[46:47], v[66:67]
	v_mul_f64 v[46:47], v[91:92], s[40:41]
	v_add_f64 v[70:71], v[44:45], v[70:71]
	v_fma_f64 v[44:45], v[38:39], s[20:21], -v[46:47]
	v_fma_f64 v[48:49], v[38:39], s[20:21], v[46:47]
	v_add_f64 v[72:73], v[44:45], v[72:73]
	v_mul_f64 v[44:45], v[93:94], s[34:35]
	v_add_f64 v[68:69], v[48:49], v[68:69]
	v_fma_f64 v[46:47], v[36:37], s[16:17], -v[44:45]
	v_fma_f64 v[44:45], v[36:37], s[16:17], v[44:45]
	v_add_f64 v[74:75], v[46:47], v[74:75]
	v_mul_f64 v[46:47], v[91:92], s[34:35]
	v_add_f64 v[78:79], v[44:45], v[78:79]
	v_fma_f64 v[44:45], v[38:39], s[16:17], -v[46:47]
	v_fma_f64 v[48:49], v[38:39], s[16:17], v[46:47]
	v_add_f64 v[81:82], v[44:45], v[81:82]
	v_mul_f64 v[44:45], v[93:94], s[38:39]
	v_add_f64 v[76:77], v[48:49], v[76:77]
	v_add_f64 v[93:94], v[102:103], -v[134:135]
	v_fma_f64 v[46:47], v[36:37], s[2:3], -v[44:45]
	v_fma_f64 v[44:45], v[36:37], s[2:3], v[44:45]
	v_add_f64 v[83:84], v[46:47], v[83:84]
	v_mul_f64 v[46:47], v[91:92], s[38:39]
	v_add_f64 v[87:88], v[44:45], v[87:88]
	v_add_f64 v[91:92], v[100:101], -v[132:133]
	v_fma_f64 v[48:49], v[38:39], s[2:3], v[46:47]
	v_fma_f64 v[44:45], v[38:39], s[2:3], -v[46:47]
	v_add_f64 v[46:47], v[102:103], v[134:135]
	v_mul_f64 v[50:51], v[91:92], s[36:37]
	v_add_f64 v[85:86], v[48:49], v[85:86]
	v_add_f64 v[89:90], v[44:45], v[89:90]
	v_add_f64 v[44:45], v[100:101], v[132:133]
	v_mul_f64 v[48:49], v[93:94], s[36:37]
	v_fma_f64 v[180:181], v[44:45], s[16:17], v[48:49]
	v_add_f64 v[172:173], v[180:181], v[172:173]
	v_fma_f64 v[180:181], v[46:47], s[16:17], -v[50:51]
	v_add_f64 v[174:175], v[180:181], v[174:175]
	v_mul_f64 v[180:181], v[93:94], s[30:31]
	v_fma_f64 v[182:183], v[44:45], s[22:23], -v[180:181]
	v_fma_f64 v[180:181], v[44:45], s[22:23], v[180:181]
	v_add_f64 v[176:177], v[182:183], v[176:177]
	v_mul_f64 v[182:183], v[91:92], s[30:31]
	v_add_f64 v[180:181], v[180:181], v[52:53]
	v_fma_f64 v[52:53], v[46:47], s[22:23], -v[182:183]
	v_fma_f64 v[184:185], v[46:47], s[22:23], v[182:183]
	v_add_f64 v[182:183], v[52:53], v[54:55]
	v_mul_f64 v[52:53], v[93:94], s[48:49]
	v_add_f64 v[178:179], v[184:185], v[178:179]
	v_fma_f64 v[54:55], v[44:45], s[18:19], -v[52:53]
	v_fma_f64 v[52:53], v[44:45], s[18:19], v[52:53]
	v_add_f64 v[184:185], v[54:55], v[56:57]
	v_mul_f64 v[54:55], v[91:92], s[48:49]
	v_add_f64 v[60:61], v[52:53], v[60:61]
	v_fma_f64 v[52:53], v[46:47], s[18:19], -v[54:55]
	v_fma_f64 v[56:57], v[46:47], s[18:19], v[54:55]
	v_add_f64 v[62:63], v[52:53], v[62:63]
	v_mul_f64 v[52:53], v[93:94], s[38:39]
	v_add_f64 v[186:187], v[56:57], v[58:59]
	v_fma_f64 v[54:55], v[44:45], s[2:3], -v[52:53]
	v_fma_f64 v[52:53], v[44:45], s[2:3], v[52:53]
	v_add_f64 v[66:67], v[54:55], v[66:67]
	v_mul_f64 v[54:55], v[91:92], s[38:39]
	v_add_f64 v[70:71], v[52:53], v[70:71]
	v_fma_f64 v[52:53], v[46:47], s[2:3], -v[54:55]
	v_fma_f64 v[56:57], v[46:47], s[2:3], v[54:55]
	v_add_f64 v[72:73], v[52:53], v[72:73]
	v_mul_f64 v[52:53], v[93:94], s[28:29]
	v_add_f64 v[68:69], v[56:57], v[68:69]
	v_fma_f64 v[54:55], v[44:45], s[12:13], -v[52:53]
	v_fma_f64 v[52:53], v[44:45], s[12:13], v[52:53]
	v_add_f64 v[74:75], v[54:55], v[74:75]
	v_mul_f64 v[54:55], v[91:92], s[28:29]
	v_add_f64 v[78:79], v[52:53], v[78:79]
	v_fma_f64 v[52:53], v[46:47], s[12:13], -v[54:55]
	v_fma_f64 v[56:57], v[46:47], s[12:13], v[54:55]
	v_add_f64 v[81:82], v[52:53], v[81:82]
	v_mul_f64 v[52:53], v[93:94], s[26:27]
	v_add_f64 v[76:77], v[56:57], v[76:77]
	v_add_f64 v[93:94], v[106:107], -v[130:131]
	v_fma_f64 v[54:55], v[44:45], s[20:21], -v[52:53]
	v_fma_f64 v[52:53], v[44:45], s[20:21], v[52:53]
	v_add_f64 v[83:84], v[54:55], v[83:84]
	v_mul_f64 v[54:55], v[91:92], s[26:27]
	v_add_f64 v[87:88], v[52:53], v[87:88]
	v_add_f64 v[91:92], v[104:105], -v[128:129]
	v_fma_f64 v[56:57], v[46:47], s[20:21], v[54:55]
	v_fma_f64 v[52:53], v[46:47], s[20:21], -v[54:55]
	v_add_f64 v[54:55], v[106:107], v[130:131]
	v_mul_f64 v[58:59], v[91:92], s[24:25]
	v_add_f64 v[85:86], v[56:57], v[85:86]
	v_add_f64 v[89:90], v[52:53], v[89:90]
	v_add_f64 v[52:53], v[104:105], v[128:129]
	;; [unrolled: 60-line block ×4, first 2 shown]
	v_mul_f64 v[74:75], v[93:94], s[30:31]
	v_fma_f64 v[204:205], v[70:71], s[22:23], v[74:75]
	v_add_f64 v[204:205], v[204:205], v[172:173]
	v_fma_f64 v[172:173], v[72:73], s[22:23], -v[76:77]
	v_add_f64 v[206:207], v[172:173], v[174:175]
	v_mul_f64 v[172:173], v[93:94], s[38:39]
	buffer_store_dword v204, off, s[52:55], 0 offset:16 ; 4-byte Folded Spill
	s_nop 0
	buffer_store_dword v205, off, s[52:55], 0 offset:20 ; 4-byte Folded Spill
	buffer_store_dword v206, off, s[52:55], 0 offset:24 ; 4-byte Folded Spill
	;; [unrolled: 1-line block ×3, first 2 shown]
	v_fma_f64 v[174:175], v[70:71], s[2:3], -v[172:173]
	v_fma_f64 v[172:173], v[70:71], s[2:3], v[172:173]
	v_add_f64 v[204:205], v[174:175], v[176:177]
	v_mul_f64 v[174:175], v[91:92], s[38:39]
	v_fma_f64 v[176:177], v[72:73], s[2:3], v[174:175]
	v_add_f64 v[206:207], v[176:177], v[178:179]
	v_add_f64 v[176:177], v[172:173], v[180:181]
	v_fma_f64 v[172:173], v[72:73], s[2:3], -v[174:175]
	buffer_store_dword v204, off, s[52:55], 0 ; 4-byte Folded Spill
	s_nop 0
	buffer_store_dword v205, off, s[52:55], 0 offset:4 ; 4-byte Folded Spill
	buffer_store_dword v206, off, s[52:55], 0 offset:8 ; 4-byte Folded Spill
	;; [unrolled: 1-line block ×3, first 2 shown]
	v_add_f64 v[178:179], v[172:173], v[182:183]
	v_mul_f64 v[172:173], v[93:94], s[26:27]
	buffer_store_dword v176, off, s[52:55], 0 offset:48 ; 4-byte Folded Spill
	s_nop 0
	buffer_store_dword v177, off, s[52:55], 0 offset:52 ; 4-byte Folded Spill
	buffer_store_dword v178, off, s[52:55], 0 offset:56 ; 4-byte Folded Spill
	;; [unrolled: 1-line block ×3, first 2 shown]
	v_fma_f64 v[174:175], v[70:71], s[20:21], -v[172:173]
	v_fma_f64 v[172:173], v[70:71], s[20:21], v[172:173]
	v_add_f64 v[178:179], v[174:175], v[184:185]
	v_mul_f64 v[174:175], v[91:92], s[26:27]
	v_fma_f64 v[176:177], v[72:73], s[20:21], v[174:175]
	v_add_f64 v[180:181], v[176:177], v[186:187]
	v_add_f64 v[176:177], v[172:173], v[188:189]
	v_fma_f64 v[172:173], v[72:73], s[20:21], -v[174:175]
	buffer_store_dword v178, off, s[52:55], 0 offset:32 ; 4-byte Folded Spill
	s_nop 0
	buffer_store_dword v179, off, s[52:55], 0 offset:36 ; 4-byte Folded Spill
	buffer_store_dword v180, off, s[52:55], 0 offset:40 ; 4-byte Folded Spill
	;; [unrolled: 1-line block ×3, first 2 shown]
	v_add_f64 v[178:179], v[172:173], v[190:191]
	v_mul_f64 v[172:173], v[93:94], s[42:43]
	buffer_store_dword v176, off, s[52:55], 0 offset:80 ; 4-byte Folded Spill
	s_nop 0
	buffer_store_dword v177, off, s[52:55], 0 offset:84 ; 4-byte Folded Spill
	buffer_store_dword v178, off, s[52:55], 0 offset:88 ; 4-byte Folded Spill
	;; [unrolled: 1-line block ×3, first 2 shown]
	v_fma_f64 v[174:175], v[70:71], s[12:13], -v[172:173]
	v_fma_f64 v[172:173], v[70:71], s[12:13], v[172:173]
	v_add_f64 v[178:179], v[174:175], v[192:193]
	v_mul_f64 v[174:175], v[91:92], s[42:43]
	v_fma_f64 v[176:177], v[72:73], s[12:13], v[174:175]
	v_add_f64 v[180:181], v[176:177], v[194:195]
	v_add_f64 v[176:177], v[172:173], v[196:197]
	v_fma_f64 v[172:173], v[72:73], s[12:13], -v[174:175]
	buffer_store_dword v178, off, s[52:55], 0 offset:64 ; 4-byte Folded Spill
	s_nop 0
	buffer_store_dword v179, off, s[52:55], 0 offset:68 ; 4-byte Folded Spill
	buffer_store_dword v180, off, s[52:55], 0 offset:72 ; 4-byte Folded Spill
	;; [unrolled: 1-line block ×3, first 2 shown]
	v_add_f64 v[178:179], v[172:173], v[198:199]
	v_mul_f64 v[172:173], v[93:94], s[24:25]
	buffer_store_dword v176, off, s[52:55], 0 offset:112 ; 4-byte Folded Spill
	s_nop 0
	buffer_store_dword v177, off, s[52:55], 0 offset:116 ; 4-byte Folded Spill
	buffer_store_dword v178, off, s[52:55], 0 offset:120 ; 4-byte Folded Spill
	;; [unrolled: 1-line block ×3, first 2 shown]
	v_fma_f64 v[174:175], v[70:71], s[18:19], -v[172:173]
	v_fma_f64 v[172:173], v[70:71], s[18:19], v[172:173]
	v_add_f64 v[178:179], v[174:175], v[200:201]
	v_mul_f64 v[174:175], v[91:92], s[24:25]
	v_add_f64 v[172:173], v[172:173], v[78:79]
	v_fma_f64 v[78:79], v[72:73], s[18:19], -v[174:175]
	v_fma_f64 v[176:177], v[72:73], s[18:19], v[174:175]
	v_add_f64 v[174:175], v[78:79], v[81:82]
	v_mul_f64 v[78:79], v[93:94], s[34:35]
	v_add_f64 v[180:181], v[176:177], v[202:203]
	buffer_store_dword v178, off, s[52:55], 0 offset:96 ; 4-byte Folded Spill
	s_nop 0
	buffer_store_dword v179, off, s[52:55], 0 offset:100 ; 4-byte Folded Spill
	buffer_store_dword v180, off, s[52:55], 0 offset:104 ; 4-byte Folded Spill
	buffer_store_dword v181, off, s[52:55], 0 offset:108 ; 4-byte Folded Spill
	v_fma_f64 v[81:82], v[70:71], s[16:17], -v[78:79]
	buffer_store_dword v172, off, s[52:55], 0 offset:128 ; 4-byte Folded Spill
	s_nop 0
	buffer_store_dword v173, off, s[52:55], 0 offset:132 ; 4-byte Folded Spill
	buffer_store_dword v174, off, s[52:55], 0 offset:136 ; 4-byte Folded Spill
	;; [unrolled: 1-line block ×3, first 2 shown]
	v_fma_f64 v[78:79], v[70:71], s[16:17], v[78:79]
	v_add_f64 v[172:173], v[81:82], v[83:84]
	v_mul_f64 v[81:82], v[91:92], s[34:35]
	v_fma_f64 v[83:84], v[72:73], s[16:17], v[81:82]
	v_add_f64 v[174:175], v[83:84], v[85:86]
	v_add_f64 v[83:84], v[78:79], v[87:88]
	v_fma_f64 v[78:79], v[72:73], s[16:17], -v[81:82]
	v_mul_u32_u24_e32 v81, 13, v224
	buffer_store_dword v172, off, s[52:55], 0 offset:144 ; 4-byte Folded Spill
	s_nop 0
	buffer_store_dword v173, off, s[52:55], 0 offset:148 ; 4-byte Folded Spill
	buffer_store_dword v174, off, s[52:55], 0 offset:152 ; 4-byte Folded Spill
	buffer_store_dword v175, off, s[52:55], 0 offset:156 ; 4-byte Folded Spill
	v_add_f64 v[85:86], v[78:79], v[89:90]
	v_mul_lo_u16_e32 v78, 13, v220
	v_lshlrev_b32_e32 v82, 4, v78
	buffer_store_dword v83, off, s[52:55], 0 offset:160 ; 4-byte Folded Spill
	s_nop 0
	buffer_store_dword v84, off, s[52:55], 0 offset:164 ; 4-byte Folded Spill
	buffer_store_dword v85, off, s[52:55], 0 offset:168 ; 4-byte Folded Spill
	;; [unrolled: 1-line block ×3, first 2 shown]
	s_waitcnt vmcnt(0)
	s_barrier
	ds_write_b128 v82, v[140:143]
	ds_write_b128 v82, v[12:15] offset:16
	ds_write_b128 v82, v[144:147] offset:32
	;; [unrolled: 1-line block ×12, first 2 shown]
	s_and_saveexec_b64 s[24:25], vcc
	s_cbranch_execz .LBB0_7
; %bb.6:
	v_mul_f64 v[8:9], v[30:31], s[2:3]
	v_mul_f64 v[10:11], v[28:29], s[2:3]
	;; [unrolled: 1-line block ×4, first 2 shown]
	v_add_f64 v[6:7], v[2:3], v[6:7]
	v_add_f64 v[4:5], v[0:1], v[4:5]
	v_mul_f64 v[16:17], v[44:45], s[16:17]
	v_mul_f64 v[18:19], v[46:47], s[16:17]
	v_add_f64 v[8:9], v[34:35], v[8:9]
	v_add_f64 v[10:11], v[10:11], -v[32:33]
	v_add_f64 v[12:13], v[42:43], v[12:13]
	v_add_f64 v[14:15], v[14:15], -v[40:41]
	v_lshlrev_b32_e32 v20, 4, v81
	v_add_f64 v[6:7], v[6:7], v[98:99]
	v_add_f64 v[16:17], v[16:17], -v[48:49]
	v_add_f64 v[18:19], v[50:51], v[18:19]
	v_add_f64 v[2:3], v[2:3], v[8:9]
	;; [unrolled: 1-line block ×3, first 2 shown]
	v_mul_f64 v[8:9], v[52:53], s[18:19]
	v_mul_f64 v[10:11], v[54:55], s[18:19]
	v_add_f64 v[4:5], v[4:5], v[96:97]
	v_add_f64 v[6:7], v[6:7], v[102:103]
	;; [unrolled: 1-line block ×4, first 2 shown]
	v_mul_f64 v[12:13], v[60:61], s[20:21]
	v_mul_f64 v[14:15], v[62:63], s[20:21]
	v_add_f64 v[10:11], v[58:59], v[10:11]
	v_add_f64 v[8:9], v[8:9], -v[56:57]
	v_add_f64 v[4:5], v[4:5], v[100:101]
	v_add_f64 v[6:7], v[6:7], v[106:107]
	;; [unrolled: 1-line block ×4, first 2 shown]
	v_add_f64 v[12:13], v[12:13], -v[66:67]
	v_add_f64 v[14:15], v[68:69], v[14:15]
	v_mul_f64 v[16:17], v[70:71], s[22:23]
	v_mul_f64 v[18:19], v[72:73], s[22:23]
	v_add_f64 v[4:5], v[4:5], v[104:105]
	v_add_f64 v[6:7], v[6:7], v[114:115]
	;; [unrolled: 1-line block ×4, first 2 shown]
	v_add_f64 v[10:11], v[16:17], -v[74:75]
	v_add_f64 v[8:9], v[76:77], v[18:19]
	v_add_f64 v[4:5], v[4:5], v[112:113]
	;; [unrolled: 1-line block ×5, first 2 shown]
	buffer_load_dword v12, off, s[52:55], 0 ; 4-byte Folded Reload
	buffer_load_dword v13, off, s[52:55], 0 offset:4 ; 4-byte Folded Reload
	buffer_load_dword v14, off, s[52:55], 0 offset:8 ; 4-byte Folded Reload
	;; [unrolled: 1-line block ×3, first 2 shown]
	v_add_f64 v[4:5], v[4:5], v[116:117]
	v_add_f64 v[6:7], v[6:7], v[122:123]
	;; [unrolled: 1-line block ×15, first 2 shown]
	s_waitcnt vmcnt(0)
	ds_write_b128 v20, v[12:15] offset:32
	buffer_load_dword v12, off, s[52:55], 0 offset:32 ; 4-byte Folded Reload
	buffer_load_dword v13, off, s[52:55], 0 offset:36 ; 4-byte Folded Reload
	buffer_load_dword v14, off, s[52:55], 0 offset:40 ; 4-byte Folded Reload
	buffer_load_dword v15, off, s[52:55], 0 offset:44 ; 4-byte Folded Reload
	s_waitcnt vmcnt(0)
	ds_write_b128 v20, v[12:15] offset:48
	buffer_load_dword v12, off, s[52:55], 0 offset:64 ; 4-byte Folded Reload
	buffer_load_dword v13, off, s[52:55], 0 offset:68 ; 4-byte Folded Reload
	buffer_load_dword v14, off, s[52:55], 0 offset:72 ; 4-byte Folded Reload
	buffer_load_dword v15, off, s[52:55], 0 offset:76 ; 4-byte Folded Reload
	;; [unrolled: 6-line block ×9, first 2 shown]
	s_waitcnt vmcnt(0)
	ds_write_b128 v20, v[8:11] offset:176
	ds_write_b128 v20, v[0:3] offset:16
	ds_write_b128 v20, v[4:7]
	buffer_load_dword v0, off, s[52:55], 0 offset:16 ; 4-byte Folded Reload
	buffer_load_dword v1, off, s[52:55], 0 offset:20 ; 4-byte Folded Reload
	;; [unrolled: 1-line block ×4, first 2 shown]
	s_waitcnt vmcnt(0)
	ds_write_b128 v20, v[0:3] offset:192
.LBB0_7:
	s_or_b64 exec, exec, s[24:25]
	v_mov_b32_e32 v0, s15
	v_addc_co_u32_e64 v83, s[0:1], 0, v0, s[0:1]
	s_movk_i32 s0, 0xea
	v_add_co_u32_e64 v42, s[0:1], s0, v220
	s_movk_i32 s0, 0x4f
	v_mul_lo_u16_sdwa v26, v220, s0 dst_sel:DWORD dst_unused:UNUSED_PAD src0_sel:BYTE_0 src1_sel:DWORD
	v_lshrrev_b16_e32 v26, 10, v26
	v_mul_lo_u16_e32 v27, 13, v26
	v_sub_u16_e32 v27, v220, v27
	v_and_b32_e32 v27, 0xff, v27
	v_lshlrev_b32_e32 v40, 5, v27
	s_waitcnt lgkmcnt(0)
	s_barrier
	ds_read_b128 v[16:19], v80
	ds_read_b128 v[20:23], v80 offset:9360
	ds_read_b128 v[28:31], v80 offset:18720
	ds_read_b128 v[12:15], v80 offset:1872
	ds_read_b128 v[32:35], v80 offset:11232
	ds_read_b128 v[36:39], v80 offset:20592
	ds_read_b128 v[8:11], v80 offset:3744
	ds_read_b128 v[43:46], v80 offset:13104
	ds_read_b128 v[47:50], v80 offset:22464
	ds_read_b128 v[4:7], v80 offset:5616
	ds_read_b128 v[51:54], v80 offset:14976
	ds_read_b128 v[55:58], v80 offset:24336
	ds_read_b128 v[0:3], v80 offset:7488
	ds_read_b128 v[59:62], v80 offset:16848
	ds_read_b128 v[66:69], v80 offset:26208
	global_load_dwordx4 v[113:116], v40, s[4:5] offset:16
	global_load_dwordx4 v[117:120], v40, s[4:5]
	v_add_u32_e32 v25, 0x15f, v220
	v_add_u32_e32 v24, 0x1d4, v220
	s_mov_b32 s2, 0xe8584caa
	s_mov_b32 s3, 0x3febb67a
	;; [unrolled: 1-line block ×4, first 2 shown]
	v_mul_u32_u24_e32 v26, 39, v26
	v_add_lshl_u32 v135, v26, v27, 4
	s_mov_b32 s15, 0xa41b
	s_movk_i32 s16, 0x1000
	s_waitcnt vmcnt(0) lgkmcnt(13)
	v_mul_f64 v[40:41], v[22:23], v[119:120]
	v_fma_f64 v[40:41], v[20:21], v[117:118], -v[40:41]
	v_mul_f64 v[20:21], v[20:21], v[119:120]
	v_fma_f64 v[70:71], v[22:23], v[117:118], v[20:21]
	s_waitcnt lgkmcnt(12)
	v_mul_f64 v[20:21], v[30:31], v[115:116]
	v_fma_f64 v[72:73], v[28:29], v[113:114], -v[20:21]
	v_mul_f64 v[20:21], v[28:29], v[115:116]
	v_add_f64 v[22:23], v[40:41], v[72:73]
	v_fma_f64 v[74:75], v[30:31], v[113:114], v[20:21]
	v_mul_lo_u16_sdwa v20, v224, s0 dst_sel:DWORD dst_unused:UNUSED_PAD src0_sel:BYTE_0 src1_sel:DWORD
	v_lshrrev_b16_e32 v28, 10, v20
	v_mul_lo_u16_e32 v20, 13, v28
	v_sub_u16_e32 v20, v224, v20
	v_and_b32_e32 v29, 0xff, v20
	v_lshlrev_b32_e32 v20, 5, v29
	global_load_dwordx4 v[88:91], v20, s[4:5] offset:16
	global_load_dwordx4 v[84:87], v20, s[4:5]
	s_movk_i32 s0, 0x4ec5
	v_fma_f64 v[22:23], v[22:23], -0.5, v[16:17]
	s_waitcnt vmcnt(0) lgkmcnt(10)
	v_mul_f64 v[20:21], v[34:35], v[86:87]
	v_fma_f64 v[76:77], v[32:33], v[84:85], -v[20:21]
	v_mul_f64 v[20:21], v[32:33], v[86:87]
	buffer_store_dword v84, off, s[52:55], 0 offset:396 ; 4-byte Folded Spill
	s_nop 0
	buffer_store_dword v85, off, s[52:55], 0 offset:400 ; 4-byte Folded Spill
	buffer_store_dword v86, off, s[52:55], 0 offset:404 ; 4-byte Folded Spill
	;; [unrolled: 1-line block ×3, first 2 shown]
	v_fma_f64 v[78:79], v[34:35], v[84:85], v[20:21]
	s_waitcnt lgkmcnt(9)
	v_mul_f64 v[20:21], v[38:39], v[90:91]
	v_fma_f64 v[84:85], v[36:37], v[88:89], -v[20:21]
	v_mul_f64 v[20:21], v[36:37], v[90:91]
	buffer_store_dword v88, off, s[52:55], 0 offset:412 ; 4-byte Folded Spill
	s_nop 0
	buffer_store_dword v89, off, s[52:55], 0 offset:416 ; 4-byte Folded Spill
	buffer_store_dword v90, off, s[52:55], 0 offset:420 ; 4-byte Folded Spill
	;; [unrolled: 1-line block ×3, first 2 shown]
	v_add_f64 v[36:37], v[70:71], -v[74:75]
	v_fma_f64 v[86:87], v[38:39], v[88:89], v[20:21]
	v_mul_u32_u24_sdwa v20, v42, s0 dst_sel:DWORD dst_unused:UNUSED_PAD src0_sel:WORD_0 src1_sel:DWORD
	v_lshrrev_b32_e32 v30, 18, v20
	v_mul_lo_u16_e32 v20, 13, v30
	v_sub_u16_e32 v31, v42, v20
	v_lshlrev_b16_e32 v20, 1, v31
	v_lshlrev_b32_e32 v20, 4, v20
	global_load_dwordx4 v[129:132], v20, s[4:5] offset:16
	global_load_dwordx4 v[152:155], v20, s[4:5]
	v_add_f64 v[38:39], v[70:71], v[74:75]
	v_fma_f64 v[38:39], v[38:39], -0.5, v[18:19]
	s_waitcnt vmcnt(0) lgkmcnt(7)
	v_mul_f64 v[20:21], v[45:46], v[154:155]
	v_fma_f64 v[88:89], v[43:44], v[152:153], -v[20:21]
	v_mul_f64 v[20:21], v[43:44], v[154:155]
	v_fma_f64 v[90:91], v[45:46], v[152:153], v[20:21]
	s_waitcnt lgkmcnt(6)
	v_mul_f64 v[20:21], v[49:50], v[131:132]
	v_add_f64 v[45:46], v[78:79], -v[86:87]
	v_fma_f64 v[92:93], v[47:48], v[129:130], -v[20:21]
	v_mul_f64 v[20:21], v[47:48], v[131:132]
	v_fma_f64 v[94:95], v[49:50], v[129:130], v[20:21]
	v_mul_u32_u24_sdwa v20, v25, s0 dst_sel:DWORD dst_unused:UNUSED_PAD src0_sel:WORD_0 src1_sel:DWORD
	v_lshrrev_b32_e32 v32, 18, v20
	v_mul_lo_u16_e32 v20, 13, v32
	v_sub_u16_e32 v33, v25, v20
	v_lshlrev_b16_e32 v20, 1, v33
	v_lshlrev_b32_e32 v20, 4, v20
	global_load_dwordx4 v[156:159], v20, s[4:5] offset:16
	global_load_dwordx4 v[160:163], v20, s[4:5]
	v_add_f64 v[49:50], v[76:77], -v[84:85]
	s_waitcnt vmcnt(0) lgkmcnt(4)
	v_mul_f64 v[20:21], v[53:54], v[162:163]
	v_fma_f64 v[136:137], v[51:52], v[160:161], -v[20:21]
	v_mul_f64 v[20:21], v[51:52], v[162:163]
	v_fma_f64 v[138:139], v[53:54], v[160:161], v[20:21]
	s_waitcnt lgkmcnt(3)
	v_mul_f64 v[20:21], v[57:58], v[158:159]
	v_add_f64 v[53:54], v[90:91], -v[94:95]
	v_fma_f64 v[140:141], v[55:56], v[156:157], -v[20:21]
	v_mul_f64 v[20:21], v[55:56], v[158:159]
	v_fma_f64 v[142:143], v[57:58], v[156:157], v[20:21]
	v_mul_u32_u24_sdwa v20, v24, s0 dst_sel:DWORD dst_unused:UNUSED_PAD src0_sel:WORD_0 src1_sel:DWORD
	v_lshrrev_b32_e32 v34, 18, v20
	v_mul_lo_u16_e32 v20, 13, v34
	v_sub_u16_e32 v35, v24, v20
	v_lshlrev_b16_e32 v20, 1, v35
	v_lshlrev_b32_e32 v20, 4, v20
	global_load_dwordx4 v[164:167], v20, s[4:5] offset:16
	global_load_dwordx4 v[168:171], v20, s[4:5]
	v_add_f64 v[57:58], v[88:89], -v[92:93]
	s_movk_i32 s0, 0xa5
	s_waitcnt vmcnt(0) lgkmcnt(0)
	s_barrier
	v_mul_f64 v[20:21], v[61:62], v[170:171]
	v_fma_f64 v[144:145], v[59:60], v[168:169], -v[20:21]
	v_mul_f64 v[20:21], v[59:60], v[170:171]
	v_fma_f64 v[146:147], v[61:62], v[168:169], v[20:21]
	v_mul_f64 v[20:21], v[68:69], v[166:167]
	v_add_f64 v[61:62], v[138:139], -v[142:143]
	v_fma_f64 v[148:149], v[66:67], v[164:165], -v[20:21]
	v_mul_f64 v[20:21], v[66:67], v[166:167]
	v_fma_f64 v[150:151], v[68:69], v[164:165], v[20:21]
	v_add_f64 v[20:21], v[16:17], v[40:41]
	v_add_f64 v[40:41], v[40:41], -v[72:73]
	v_fma_f64 v[16:17], v[36:37], s[2:3], v[22:23]
	v_fma_f64 v[36:37], v[36:37], s[12:13], v[22:23]
	v_add_f64 v[22:23], v[18:19], v[70:71]
	v_add_f64 v[68:69], v[136:137], -v[140:141]
	v_add_f64 v[20:21], v[20:21], v[72:73]
	v_fma_f64 v[18:19], v[40:41], s[12:13], v[38:39]
	v_fma_f64 v[38:39], v[40:41], s[2:3], v[38:39]
	v_add_f64 v[40:41], v[12:13], v[76:77]
	v_add_f64 v[72:73], v[146:147], -v[150:151]
	v_add_f64 v[22:23], v[22:23], v[74:75]
	ds_write_b128 v135, v[20:23]
	ds_write_b128 v135, v[16:19] offset:208
	ds_write_b128 v135, v[36:39] offset:416
	v_add_f64 v[43:44], v[40:41], v[84:85]
	v_add_f64 v[40:41], v[76:77], v[84:85]
	v_add_f64 v[76:77], v[144:145], -v[148:149]
	v_mul_lo_u16_sdwa v20, v220, s0 dst_sel:DWORD dst_unused:UNUSED_PAD src0_sel:BYTE_0 src1_sel:DWORD
	v_sub_u16_sdwa v21, v220, v20 dst_sel:DWORD dst_unused:UNUSED_PAD src0_sel:DWORD src1_sel:BYTE_1
	v_lshrrev_b16_e32 v21, 1, v21
	v_mul_u32_u24_e32 v16, 39, v28
	v_and_b32_e32 v21, 0x7f, v21
	v_add_lshl_u32 v133, v16, v29, 4
	v_fma_f64 v[40:41], v[40:41], -0.5, v[12:13]
	v_add_u16_sdwa v20, v21, v20 dst_sel:DWORD dst_unused:UNUSED_PAD src0_sel:DWORD src1_sel:BYTE_1
	v_lshrrev_b16_e32 v20, 5, v20
	v_and_b32_e32 v20, 7, v20
	v_mul_lo_u16_e32 v21, 39, v20
	v_sub_u16_e32 v21, v220, v21
	v_and_b32_e32 v21, 0xff, v21
	v_lshlrev_b32_e32 v22, 5, v21
	v_fma_f64 v[12:13], v[45:46], s[2:3], v[40:41]
	v_fma_f64 v[47:48], v[45:46], s[12:13], v[40:41]
	v_add_f64 v[40:41], v[14:15], v[78:79]
	v_mul_u32_u24_sdwa v20, v20, s14 dst_sel:DWORD dst_unused:UNUSED_PAD src0_sel:WORD_0 src1_sel:DWORD
	v_add_f64 v[45:46], v[40:41], v[86:87]
	v_add_f64 v[40:41], v[78:79], v[86:87]
	v_fma_f64 v[40:41], v[40:41], -0.5, v[14:15]
	v_fma_f64 v[14:15], v[49:50], s[12:13], v[40:41]
	v_fma_f64 v[49:50], v[49:50], s[2:3], v[40:41]
	v_add_f64 v[40:41], v[8:9], v[88:89]
	ds_write_b128 v133, v[43:46]
	ds_write_b128 v133, v[12:15] offset:208
	ds_write_b128 v133, v[47:50] offset:416
	v_mad_legacy_u16 v12, v30, 39, v31
	v_lshlrev_b32_e32 v134, 4, v12
	v_add_f64 v[51:52], v[40:41], v[92:93]
	v_add_f64 v[40:41], v[88:89], v[92:93]
	v_mov_b32_e32 v43, s5
	v_fma_f64 v[40:41], v[40:41], -0.5, v[8:9]
	v_fma_f64 v[8:9], v[53:54], s[2:3], v[40:41]
	v_fma_f64 v[55:56], v[53:54], s[12:13], v[40:41]
	v_add_f64 v[40:41], v[10:11], v[90:91]
	v_add_f64 v[53:54], v[40:41], v[94:95]
	;; [unrolled: 1-line block ×3, first 2 shown]
	v_fma_f64 v[40:41], v[40:41], -0.5, v[10:11]
	v_fma_f64 v[10:11], v[57:58], s[12:13], v[40:41]
	v_fma_f64 v[57:58], v[57:58], s[2:3], v[40:41]
	v_add_f64 v[40:41], v[4:5], v[136:137]
	ds_write_b128 v134, v[51:54]
	ds_write_b128 v134, v[8:11] offset:208
	ds_write_b128 v134, v[55:58] offset:416
	v_mad_legacy_u16 v8, v32, 39, v33
	v_add_f64 v[59:60], v[40:41], v[140:141]
	v_add_f64 v[40:41], v[136:137], v[140:141]
	v_lshlrev_b32_e32 v136, 4, v8
	v_fma_f64 v[40:41], v[40:41], -0.5, v[4:5]
	v_fma_f64 v[4:5], v[61:62], s[2:3], v[40:41]
	v_fma_f64 v[66:67], v[61:62], s[12:13], v[40:41]
	v_add_f64 v[40:41], v[6:7], v[138:139]
	v_add_f64 v[61:62], v[40:41], v[142:143]
	;; [unrolled: 1-line block ×3, first 2 shown]
	v_fma_f64 v[40:41], v[40:41], -0.5, v[6:7]
	v_fma_f64 v[6:7], v[68:69], s[12:13], v[40:41]
	v_fma_f64 v[68:69], v[68:69], s[2:3], v[40:41]
	v_add_f64 v[40:41], v[0:1], v[144:145]
	ds_write_b128 v136, v[59:62]
	ds_write_b128 v136, v[4:7] offset:208
	ds_write_b128 v136, v[66:69] offset:416
	v_mad_legacy_u16 v4, v34, 39, v35
	v_lshlrev_b32_e32 v137, 4, v4
	v_add_f64 v[70:71], v[40:41], v[148:149]
	v_add_f64 v[40:41], v[144:145], v[148:149]
	v_fma_f64 v[40:41], v[40:41], -0.5, v[0:1]
	v_fma_f64 v[0:1], v[72:73], s[2:3], v[40:41]
	v_fma_f64 v[74:75], v[72:73], s[12:13], v[40:41]
	v_add_f64 v[40:41], v[2:3], v[146:147]
	v_add_f64 v[72:73], v[40:41], v[150:151]
	;; [unrolled: 1-line block ×3, first 2 shown]
	v_add_lshl_u32 v150, v20, v21, 4
	v_fma_f64 v[40:41], v[40:41], -0.5, v[2:3]
	v_fma_f64 v[2:3], v[76:77], s[12:13], v[40:41]
	v_fma_f64 v[76:77], v[76:77], s[2:3], v[40:41]
	ds_write_b128 v137, v[70:73]
	ds_write_b128 v137, v[0:3] offset:208
	ds_write_b128 v137, v[74:77] offset:416
	s_waitcnt lgkmcnt(0)
	s_barrier
	ds_read_b128 v[16:19], v80
	ds_read_b128 v[26:29], v80 offset:9360
	ds_read_b128 v[30:33], v80 offset:18720
	ds_read_b128 v[12:15], v80 offset:1872
	ds_read_b128 v[34:37], v80 offset:11232
	ds_read_b128 v[38:41], v80 offset:20592
	ds_read_b128 v[8:11], v80 offset:3744
	ds_read_b128 v[44:47], v80 offset:13104
	ds_read_b128 v[48:51], v80 offset:22464
	ds_read_b128 v[4:7], v80 offset:5616
	ds_read_b128 v[52:55], v80 offset:14976
	ds_read_b128 v[56:59], v80 offset:24336
	ds_read_b128 v[0:3], v80 offset:7488
	ds_read_b128 v[60:63], v80 offset:16848
	ds_read_b128 v[66:69], v80 offset:26208
	global_load_dwordx4 v[138:141], v22, s[4:5] offset:432
	global_load_dwordx4 v[142:145], v22, s[4:5] offset:416
	s_waitcnt vmcnt(0) lgkmcnt(13)
	v_mul_f64 v[22:23], v[28:29], v[144:145]
	v_fma_f64 v[70:71], v[26:27], v[142:143], -v[22:23]
	v_mul_f64 v[22:23], v[26:27], v[144:145]
	v_fma_f64 v[72:73], v[28:29], v[142:143], v[22:23]
	s_waitcnt lgkmcnt(12)
	v_mul_f64 v[22:23], v[32:33], v[140:141]
	v_fma_f64 v[74:75], v[30:31], v[138:139], -v[22:23]
	v_mul_f64 v[22:23], v[30:31], v[140:141]
	v_fma_f64 v[76:77], v[32:33], v[138:139], v[22:23]
	v_mul_lo_u16_sdwa v22, v224, s0 dst_sel:DWORD dst_unused:UNUSED_PAD src0_sel:BYTE_0 src1_sel:DWORD
	v_sub_u16_sdwa v23, v224, v22 dst_sel:DWORD dst_unused:UNUSED_PAD src0_sel:DWORD src1_sel:BYTE_1
	v_lshrrev_b16_e32 v23, 1, v23
	v_and_b32_e32 v23, 0x7f, v23
	v_add_u16_sdwa v22, v23, v22 dst_sel:DWORD dst_unused:UNUSED_PAD src0_sel:DWORD src1_sel:BYTE_1
	v_lshrrev_b16_e32 v22, 5, v22
	v_and_b32_e32 v22, 7, v22
	v_mul_lo_u16_e32 v23, 39, v22
	v_sub_u16_e32 v23, v224, v23
	v_and_b32_e32 v23, 0xff, v23
	v_lshlrev_b32_e32 v26, 5, v23
	global_load_dwordx4 v[146:149], v26, s[4:5] offset:432
	global_load_dwordx4 v[172:175], v26, s[4:5] offset:416
	s_waitcnt vmcnt(0) lgkmcnt(10)
	v_mul_f64 v[26:27], v[36:37], v[174:175]
	v_fma_f64 v[78:79], v[34:35], v[172:173], -v[26:27]
	v_mul_f64 v[26:27], v[34:35], v[174:175]
	v_add_f64 v[34:35], v[70:71], v[74:75]
	v_fma_f64 v[84:85], v[36:37], v[172:173], v[26:27]
	s_waitcnt lgkmcnt(9)
	v_mul_f64 v[26:27], v[40:41], v[148:149]
	v_fma_f64 v[34:35], v[34:35], -0.5, v[16:17]
	v_add_f64 v[36:37], v[72:73], -v[76:77]
	v_fma_f64 v[86:87], v[38:39], v[146:147], -v[26:27]
	v_mul_f64 v[26:27], v[38:39], v[148:149]
	v_add_f64 v[38:39], v[72:73], v[76:77]
	v_fma_f64 v[40:41], v[40:41], v[146:147], v[26:27]
	v_mul_u32_u24_sdwa v26, v42, s15 dst_sel:DWORD dst_unused:UNUSED_PAD src0_sel:WORD_0 src1_sel:DWORD
	v_sub_u16_sdwa v27, v42, v26 dst_sel:DWORD dst_unused:UNUSED_PAD src0_sel:DWORD src1_sel:WORD_1
	v_lshrrev_b16_e32 v27, 1, v27
	v_add_u16_sdwa v26, v27, v26 dst_sel:DWORD dst_unused:UNUSED_PAD src0_sel:DWORD src1_sel:WORD_1
	v_lshrrev_b16_e32 v26, 5, v26
	v_mul_lo_u16_e32 v27, 39, v26
	v_sub_u16_e32 v27, v42, v27
	v_lshlrev_b16_e32 v28, 5, v27
	v_add_co_u32_e64 v28, s[0:1], s4, v28
	v_addc_co_u32_e64 v29, s[0:1], 0, v43, s[0:1]
	global_load_dwordx4 v[192:195], v[28:29], off offset:432
	global_load_dwordx4 v[244:247], v[28:29], off offset:416
	v_fma_f64 v[38:39], v[38:39], -0.5, v[18:19]
	s_waitcnt vmcnt(0) lgkmcnt(7)
	v_mul_f64 v[28:29], v[46:47], v[246:247]
	v_fma_f64 v[88:89], v[44:45], v[244:245], -v[28:29]
	v_mul_f64 v[28:29], v[44:45], v[246:247]
	v_add_f64 v[44:45], v[70:71], -v[74:75]
	v_fma_f64 v[90:91], v[46:47], v[244:245], v[28:29]
	s_waitcnt lgkmcnt(6)
	v_mul_f64 v[28:29], v[50:51], v[194:195]
	v_add_f64 v[46:47], v[78:79], v[86:87]
	v_fma_f64 v[92:93], v[48:49], v[192:193], -v[28:29]
	v_mul_f64 v[28:29], v[48:49], v[194:195]
	v_fma_f64 v[46:47], v[46:47], -0.5, v[12:13]
	v_add_f64 v[48:49], v[84:85], -v[40:41]
	v_fma_f64 v[94:95], v[50:51], v[192:193], v[28:29]
	v_mul_u32_u24_sdwa v28, v25, s15 dst_sel:DWORD dst_unused:UNUSED_PAD src0_sel:WORD_0 src1_sel:DWORD
	v_sub_u16_sdwa v29, v25, v28 dst_sel:DWORD dst_unused:UNUSED_PAD src0_sel:DWORD src1_sel:WORD_1
	v_lshrrev_b16_e32 v29, 1, v29
	v_add_u16_sdwa v28, v29, v28 dst_sel:DWORD dst_unused:UNUSED_PAD src0_sel:DWORD src1_sel:WORD_1
	v_lshrrev_b16_e32 v28, 5, v28
	v_mul_lo_u16_e32 v29, 39, v28
	v_sub_u16_e32 v29, v25, v29
	v_lshlrev_b16_e32 v30, 5, v29
	v_add_co_u32_e64 v30, s[0:1], s4, v30
	v_addc_co_u32_e64 v31, s[0:1], 0, v43, s[0:1]
	global_load_dwordx4 v[248:251], v[30:31], off offset:432
	global_load_dwordx4 v[252:255], v[30:31], off offset:416
	v_add_f64 v[50:51], v[78:79], -v[86:87]
	s_waitcnt vmcnt(0) lgkmcnt(4)
	v_mul_f64 v[30:31], v[54:55], v[254:255]
	v_fma_f64 v[176:177], v[52:53], v[252:253], -v[30:31]
	v_mul_f64 v[30:31], v[52:53], v[254:255]
	v_fma_f64 v[178:179], v[54:55], v[252:253], v[30:31]
	s_waitcnt lgkmcnt(3)
	v_mul_f64 v[30:31], v[58:59], v[250:251]
	v_add_f64 v[54:55], v[90:91], -v[94:95]
	v_fma_f64 v[180:181], v[56:57], v[248:249], -v[30:31]
	v_mul_f64 v[30:31], v[56:57], v[250:251]
	v_fma_f64 v[182:183], v[58:59], v[248:249], v[30:31]
	v_mul_u32_u24_sdwa v30, v24, s15 dst_sel:DWORD dst_unused:UNUSED_PAD src0_sel:WORD_0 src1_sel:DWORD
	v_sub_u16_sdwa v31, v24, v30 dst_sel:DWORD dst_unused:UNUSED_PAD src0_sel:DWORD src1_sel:WORD_1
	v_lshrrev_b16_e32 v31, 1, v31
	v_add_u16_sdwa v30, v31, v30 dst_sel:DWORD dst_unused:UNUSED_PAD src0_sel:DWORD src1_sel:WORD_1
	v_lshrrev_b16_e32 v30, 5, v30
	v_mul_lo_u16_e32 v31, 39, v30
	v_sub_u16_e32 v31, v24, v31
	v_lshlrev_b16_e32 v32, 5, v31
	v_add_co_u32_e64 v32, s[0:1], s4, v32
	v_addc_co_u32_e64 v33, s[0:1], 0, v43, s[0:1]
	global_load_dwordx4 v[121:124], v[32:33], off offset:432
	global_load_dwordx4 v[229:232], v[32:33], off offset:416
	v_add_f64 v[58:59], v[88:89], -v[92:93]
	s_waitcnt vmcnt(0) lgkmcnt(0)
	s_barrier
	s_mov_b32 s15, 0xbfe2cf23
	v_mul_f64 v[32:33], v[62:63], v[231:232]
	v_fma_f64 v[184:185], v[60:61], v[229:230], -v[32:33]
	v_mul_f64 v[32:33], v[60:61], v[231:232]
	v_fma_f64 v[186:187], v[62:63], v[229:230], v[32:33]
	v_mul_f64 v[32:33], v[68:69], v[123:124]
	v_add_f64 v[62:63], v[178:179], -v[182:183]
	v_fma_f64 v[188:189], v[66:67], v[121:122], -v[32:33]
	v_mul_f64 v[32:33], v[66:67], v[123:124]
	v_fma_f64 v[190:191], v[68:69], v[121:122], v[32:33]
	v_add_f64 v[32:33], v[16:17], v[70:71]
	v_fma_f64 v[16:17], v[36:37], s[2:3], v[34:35]
	v_fma_f64 v[36:37], v[36:37], s[12:13], v[34:35]
	v_add_f64 v[34:35], v[18:19], v[72:73]
	v_fma_f64 v[18:19], v[44:45], s[12:13], v[38:39]
	;; [unrolled: 3-line block ×3, first 2 shown]
	v_fma_f64 v[48:49], v[48:49], s[12:13], v[46:47]
	v_add_f64 v[46:47], v[14:15], v[84:85]
	v_add_f64 v[68:69], v[176:177], -v[180:181]
	v_add_f64 v[72:73], v[186:187], -v[190:191]
	v_add_f64 v[32:33], v[32:33], v[74:75]
	v_add_f64 v[34:35], v[34:35], v[76:77]
	v_add_f64 v[76:77], v[184:185], -v[188:189]
	v_add_f64 v[44:45], v[44:45], v[86:87]
	ds_write_b128 v150, v[32:35]
	ds_write_b128 v150, v[16:19] offset:624
	ds_write_b128 v150, v[36:39] offset:1248
	v_add_f64 v[46:47], v[46:47], v[40:41]
	v_add_f64 v[40:41], v[84:85], v[40:41]
	v_mul_u32_u24_sdwa v16, v22, s14 dst_sel:DWORD dst_unused:UNUSED_PAD src0_sel:WORD_0 src1_sel:DWORD
	v_add_lshl_u32 v151, v16, v23, 4
	v_fma_f64 v[40:41], v[40:41], -0.5, v[14:15]
	v_fma_f64 v[14:15], v[50:51], s[12:13], v[40:41]
	v_fma_f64 v[50:51], v[50:51], s[2:3], v[40:41]
	v_add_f64 v[40:41], v[8:9], v[88:89]
	ds_write_b128 v151, v[44:47]
	ds_write_b128 v151, v[12:15] offset:624
	ds_write_b128 v151, v[48:51] offset:1248
	v_mad_legacy_u16 v12, v26, s14, v27
	v_add_f64 v[52:53], v[40:41], v[92:93]
	v_add_f64 v[40:41], v[88:89], v[92:93]
	v_fma_f64 v[40:41], v[40:41], -0.5, v[8:9]
	v_fma_f64 v[8:9], v[54:55], s[2:3], v[40:41]
	v_fma_f64 v[56:57], v[54:55], s[12:13], v[40:41]
	v_add_f64 v[40:41], v[10:11], v[90:91]
	v_add_f64 v[54:55], v[40:41], v[94:95]
	v_add_f64 v[40:41], v[90:91], v[94:95]
	v_fma_f64 v[40:41], v[40:41], -0.5, v[10:11]
	v_fma_f64 v[10:11], v[58:59], s[12:13], v[40:41]
	v_fma_f64 v[58:59], v[58:59], s[2:3], v[40:41]
	v_add_f64 v[40:41], v[4:5], v[176:177]
	;; [unrolled: 6-line block ×4, first 2 shown]
	v_add_f64 v[70:71], v[40:41], v[188:189]
	v_add_f64 v[40:41], v[184:185], v[188:189]
	v_lshlrev_b32_e32 v184, 4, v12
	ds_write_b128 v184, v[52:55]
	ds_write_b128 v184, v[8:11] offset:624
	ds_write_b128 v184, v[56:59] offset:1248
	v_mad_legacy_u16 v8, v28, s14, v29
	v_lshlrev_b32_e32 v185, 4, v8
	ds_write_b128 v185, v[60:63]
	ds_write_b128 v185, v[4:7] offset:624
	ds_write_b128 v185, v[66:69] offset:1248
	v_mad_legacy_u16 v4, v30, s14, v31
	v_lshlrev_b32_e32 v66, 5, v220
	v_fma_f64 v[40:41], v[40:41], -0.5, v[0:1]
	v_fma_f64 v[0:1], v[72:73], s[2:3], v[40:41]
	v_fma_f64 v[74:75], v[72:73], s[12:13], v[40:41]
	v_add_f64 v[40:41], v[2:3], v[186:187]
	v_add_f64 v[72:73], v[40:41], v[190:191]
	;; [unrolled: 1-line block ×3, first 2 shown]
	v_lshlrev_b32_e32 v186, 4, v4
	v_fma_f64 v[40:41], v[40:41], -0.5, v[2:3]
	v_fma_f64 v[2:3], v[76:77], s[12:13], v[40:41]
	v_fma_f64 v[76:77], v[76:77], s[2:3], v[40:41]
	ds_write_b128 v186, v[70:73]
	ds_write_b128 v186, v[0:3] offset:624
	ds_write_b128 v186, v[74:77] offset:1248
	s_waitcnt lgkmcnt(0)
	s_barrier
	ds_read_b128 v[16:19], v80
	ds_read_b128 v[20:23], v80 offset:9360
	ds_read_b128 v[26:29], v80 offset:18720
	;; [unrolled: 1-line block ×14, first 2 shown]
	global_load_dwordx4 v[176:179], v66, s[4:5] offset:1680
	global_load_dwordx4 v[180:183], v66, s[4:5] offset:1664
	s_mov_b32 s5, 0x8c09
	s_waitcnt vmcnt(0) lgkmcnt(13)
	v_mul_f64 v[66:67], v[22:23], v[182:183]
	v_fma_f64 v[66:67], v[20:21], v[180:181], -v[66:67]
	v_mul_f64 v[20:21], v[20:21], v[182:183]
	v_fma_f64 v[68:69], v[22:23], v[180:181], v[20:21]
	s_waitcnt lgkmcnt(12)
	v_mul_f64 v[20:21], v[28:29], v[178:179]
	v_fma_f64 v[70:71], v[26:27], v[176:177], -v[20:21]
	v_mul_f64 v[20:21], v[26:27], v[178:179]
	v_fma_f64 v[72:73], v[28:29], v[176:177], v[20:21]
	s_waitcnt lgkmcnt(10)
	v_mul_f64 v[20:21], v[32:33], v[182:183]
	v_add_f64 v[27:28], v[68:69], -v[72:73]
	v_fma_f64 v[74:75], v[30:31], v[180:181], -v[20:21]
	v_mul_f64 v[20:21], v[30:31], v[182:183]
	v_add_f64 v[29:30], v[68:69], v[72:73]
	v_fma_f64 v[76:77], v[32:33], v[180:181], v[20:21]
	s_waitcnt lgkmcnt(9)
	v_mul_f64 v[20:21], v[36:37], v[178:179]
	v_fma_f64 v[29:30], v[29:30], -0.5, v[18:19]
	v_add_f64 v[31:32], v[66:67], -v[70:71]
	v_fma_f64 v[78:79], v[34:35], v[176:177], -v[20:21]
	v_mul_f64 v[20:21], v[34:35], v[178:179]
	v_add_f64 v[33:34], v[74:75], v[78:79]
	v_fma_f64 v[84:85], v[36:37], v[176:177], v[20:21]
	v_mul_u32_u24_sdwa v20, v42, s5 dst_sel:DWORD dst_unused:UNUSED_PAD src0_sel:WORD_0 src1_sel:DWORD
	v_lshrrev_b32_e32 v20, 22, v20
	v_mul_lo_u16_e32 v20, 0x75, v20
	v_sub_u16_e32 v20, v42, v20
	v_lshlrev_b16_e32 v21, 5, v20
	v_add_co_u32_e64 v21, s[0:1], s4, v21
	v_addc_co_u32_e64 v22, s[0:1], 0, v43, s[0:1]
	global_load_dwordx4 v[187:190], v[21:22], off offset:1680
	global_load_dwordx4 v[196:199], v[21:22], off offset:1664
	v_fma_f64 v[33:34], v[33:34], -0.5, v[12:13]
	v_add_f64 v[35:36], v[76:77], -v[84:85]
	v_lshlrev_b32_e32 v191, 4, v20
	s_waitcnt vmcnt(0) lgkmcnt(7)
	v_mul_f64 v[21:22], v[40:41], v[198:199]
	v_fma_f64 v[86:87], v[38:39], v[196:197], -v[21:22]
	v_mul_f64 v[21:22], v[38:39], v[198:199]
	v_add_f64 v[37:38], v[76:77], v[84:85]
	v_fma_f64 v[39:40], v[40:41], v[196:197], v[21:22]
	s_waitcnt lgkmcnt(6)
	v_mul_f64 v[21:22], v[46:47], v[189:190]
	v_fma_f64 v[37:38], v[37:38], -0.5, v[14:15]
	v_fma_f64 v[88:89], v[44:45], v[187:188], -v[21:22]
	v_mul_f64 v[21:22], v[44:45], v[189:190]
	v_add_f64 v[44:45], v[74:75], -v[78:79]
	v_fma_f64 v[90:91], v[46:47], v[187:188], v[21:22]
	v_mul_u32_u24_sdwa v21, v25, s5 dst_sel:DWORD dst_unused:UNUSED_PAD src0_sel:WORD_0 src1_sel:DWORD
	v_lshrrev_b32_e32 v21, 22, v21
	v_mul_lo_u16_e32 v21, 0x75, v21
	v_sub_u16_e32 v21, v25, v21
	v_lshlrev_b16_e32 v22, 5, v21
	v_add_co_u32_e64 v22, s[0:1], s4, v22
	v_addc_co_u32_e64 v23, s[0:1], 0, v43, s[0:1]
	global_load_dwordx4 v[200:203], v[22:23], off offset:1680
	global_load_dwordx4 v[204:207], v[22:23], off offset:1664
	v_add_f64 v[25:26], v[66:67], v[70:71]
	v_add_f64 v[46:47], v[86:87], v[88:89]
	v_fma_f64 v[25:26], v[25:26], -0.5, v[16:17]
	v_fma_f64 v[46:47], v[46:47], -0.5, v[8:9]
	s_waitcnt vmcnt(0) lgkmcnt(4)
	v_mul_f64 v[22:23], v[50:51], v[206:207]
	v_fma_f64 v[92:93], v[48:49], v[204:205], -v[22:23]
	v_mul_f64 v[22:23], v[48:49], v[206:207]
	v_add_f64 v[48:49], v[39:40], -v[90:91]
	v_fma_f64 v[94:95], v[50:51], v[204:205], v[22:23]
	s_waitcnt lgkmcnt(3)
	v_mul_f64 v[22:23], v[54:55], v[202:203]
	v_add_f64 v[50:51], v[86:87], -v[88:89]
	v_fma_f64 v[208:209], v[52:53], v[200:201], -v[22:23]
	v_mul_f64 v[22:23], v[52:53], v[202:203]
	v_fma_f64 v[210:211], v[54:55], v[200:201], v[22:23]
	v_mul_u32_u24_sdwa v22, v24, s5 dst_sel:DWORD dst_unused:UNUSED_PAD src0_sel:WORD_0 src1_sel:DWORD
	v_lshrrev_b32_e32 v22, 22, v22
	v_mul_lo_u16_e32 v22, 0x75, v22
	v_sub_u16_e32 v22, v24, v22
	v_lshlrev_b16_e32 v23, 5, v22
	v_add_co_u32_e64 v23, s[0:1], s4, v23
	v_addc_co_u32_e64 v24, s[0:1], 0, v43, s[0:1]
	global_load_dwordx4 v[233:236], v[23:24], off offset:1680
	global_load_dwordx4 v[237:240], v[23:24], off offset:1664
	v_add_f64 v[54:55], v[94:95], -v[210:211]
	s_waitcnt vmcnt(0) lgkmcnt(0)
	s_barrier
	s_mov_b32 s5, 0xbfee6f0e
	v_mul_f64 v[23:24], v[58:59], v[239:240]
	v_fma_f64 v[212:213], v[56:57], v[237:238], -v[23:24]
	v_mul_f64 v[23:24], v[56:57], v[239:240]
	v_fma_f64 v[214:215], v[58:59], v[237:238], v[23:24]
	v_mul_f64 v[23:24], v[62:63], v[235:236]
	v_add_f64 v[58:59], v[92:93], -v[208:209]
	v_fma_f64 v[216:217], v[60:61], v[233:234], -v[23:24]
	v_mul_f64 v[23:24], v[60:61], v[235:236]
	v_fma_f64 v[218:219], v[62:63], v[233:234], v[23:24]
	v_add_f64 v[23:24], v[16:17], v[66:67]
	v_fma_f64 v[16:17], v[27:28], s[2:3], v[25:26]
	v_fma_f64 v[27:28], v[27:28], s[12:13], v[25:26]
	v_add_f64 v[25:26], v[18:19], v[68:69]
	v_fma_f64 v[18:19], v[31:32], s[12:13], v[29:30]
	;; [unrolled: 3-line block ×5, first 2 shown]
	v_fma_f64 v[48:49], v[48:49], s[12:13], v[46:47]
	v_add_f64 v[46:47], v[10:11], v[39:40]
	v_add_f64 v[39:40], v[39:40], v[90:91]
	v_add_f64 v[62:63], v[214:215], -v[218:219]
	v_add_f64 v[68:69], v[212:213], -v[216:217]
	v_add_f64 v[23:24], v[23:24], v[70:71]
	v_add_f64 v[25:26], v[25:26], v[72:73]
	;; [unrolled: 1-line block ×5, first 2 shown]
	v_fma_f64 v[39:40], v[39:40], -0.5, v[10:11]
	v_add_f64 v[33:34], v[33:34], v[84:85]
	ds_write_b128 v80, v[23:26]
	ds_write_b128 v80, v[16:19] offset:1872
	ds_write_b128 v80, v[27:30] offset:3744
	;; [unrolled: 1-line block ×5, first 2 shown]
	v_fma_f64 v[10:11], v[50:51], s[12:13], v[39:40]
	v_fma_f64 v[50:51], v[50:51], s[2:3], v[39:40]
	v_add_f64 v[39:40], v[4:5], v[92:93]
	ds_write_b128 v191, v[44:47] offset:11232
	ds_write_b128 v191, v[8:11] offset:13104
	;; [unrolled: 1-line block ×3, first 2 shown]
	v_lshlrev_b32_e32 v8, 6, v220
	v_add_f64 v[52:53], v[39:40], v[208:209]
	v_add_f64 v[39:40], v[92:93], v[208:209]
	v_lshlrev_b32_e32 v208, 4, v21
	v_lshlrev_b32_e32 v209, 4, v22
	v_fma_f64 v[39:40], v[39:40], -0.5, v[4:5]
	v_fma_f64 v[4:5], v[54:55], s[2:3], v[39:40]
	v_fma_f64 v[56:57], v[54:55], s[12:13], v[39:40]
	v_add_f64 v[39:40], v[6:7], v[94:95]
	v_add_f64 v[54:55], v[39:40], v[210:211]
	;; [unrolled: 1-line block ×3, first 2 shown]
	v_fma_f64 v[39:40], v[39:40], -0.5, v[6:7]
	v_fma_f64 v[6:7], v[58:59], s[12:13], v[39:40]
	v_fma_f64 v[58:59], v[58:59], s[2:3], v[39:40]
	v_add_f64 v[39:40], v[0:1], v[212:213]
	ds_write_b128 v208, v[52:55] offset:16848
	ds_write_b128 v208, v[4:7] offset:18720
	;; [unrolled: 1-line block ×3, first 2 shown]
	v_add_f64 v[60:61], v[39:40], v[216:217]
	v_add_f64 v[39:40], v[212:213], v[216:217]
	v_fma_f64 v[39:40], v[39:40], -0.5, v[0:1]
	v_fma_f64 v[0:1], v[62:63], s[2:3], v[39:40]
	v_fma_f64 v[66:67], v[62:63], s[12:13], v[39:40]
	v_add_f64 v[39:40], v[2:3], v[214:215]
	v_add_f64 v[62:63], v[39:40], v[218:219]
	;; [unrolled: 1-line block ×3, first 2 shown]
	v_fma_f64 v[39:40], v[39:40], -0.5, v[2:3]
	v_fma_f64 v[2:3], v[68:69], s[12:13], v[39:40]
	v_fma_f64 v[68:69], v[68:69], s[2:3], v[39:40]
	ds_write_b128 v209, v[60:63] offset:22464
	ds_write_b128 v209, v[0:3] offset:24336
	;; [unrolled: 1-line block ×3, first 2 shown]
	v_add_co_u32_e64 v66, s[0:1], s4, v8
	v_addc_co_u32_e64 v67, s[0:1], 0, v43, s[0:1]
	s_movk_i32 s2, 0x1520
	v_add_co_u32_e64 v8, s[0:1], s2, v66
	v_addc_co_u32_e64 v9, s[0:1], 0, v67, s[0:1]
	v_add_co_u32_e64 v66, s[0:1], s16, v66
	s_waitcnt lgkmcnt(0)
	s_barrier
	ds_read_b128 v[10:13], v80
	ds_read_b128 v[30:33], v80 offset:5616
	ds_read_b128 v[34:37], v80 offset:11232
	;; [unrolled: 1-line block ×14, first 2 shown]
	buffer_store_dword v220, off, s[52:55], 0 offset:392 ; 4-byte Folded Spill
	v_addc_co_u32_e64 v67, s[0:1], 0, v67, s[0:1]
	global_load_dwordx4 v[210:213], v[66:67], off offset:1312
	global_load_dwordx4 v[214:217], v[8:9], off offset:48
	;; [unrolled: 1-line block ×4, first 2 shown]
	s_mov_b32 s12, 0x134454ff
	s_mov_b32 s13, 0x3fee6f0e
	s_waitcnt vmcnt(3) lgkmcnt(13)
	v_mul_f64 v[8:9], v[32:33], v[212:213]
	v_fma_f64 v[72:73], v[30:31], v[210:211], -v[8:9]
	v_mul_f64 v[8:9], v[30:31], v[212:213]
	v_fma_f64 v[30:31], v[32:33], v[210:211], v[8:9]
	s_waitcnt vmcnt(0) lgkmcnt(12)
	v_mul_f64 v[8:9], v[36:37], v[227:228]
	v_fma_f64 v[74:75], v[34:35], v[225:226], -v[8:9]
	v_mul_f64 v[8:9], v[34:35], v[227:228]
	v_fma_f64 v[32:33], v[36:37], v[225:226], v[8:9]
	s_waitcnt lgkmcnt(11)
	v_mul_f64 v[8:9], v[40:41], v[220:221]
	v_fma_f64 v[76:77], v[38:39], v[218:219], -v[8:9]
	v_mul_f64 v[8:9], v[38:39], v[220:221]
	v_fma_f64 v[34:35], v[40:41], v[218:219], v[8:9]
	s_waitcnt lgkmcnt(10)
	v_mul_f64 v[8:9], v[46:47], v[216:217]
	v_fma_f64 v[78:79], v[44:45], v[214:215], -v[8:9]
	v_mul_f64 v[8:9], v[44:45], v[216:217]
	v_fma_f64 v[38:39], v[46:47], v[214:215], v[8:9]
	v_lshlrev_b32_e32 v8, 6, v224
	v_add_co_u32_e64 v36, s[0:1], s4, v8
	v_addc_co_u32_e64 v37, s[0:1], 0, v43, s[0:1]
	v_add_co_u32_e64 v8, s[0:1], s2, v36
	v_addc_co_u32_e64 v9, s[0:1], 0, v37, s[0:1]
	;; [unrolled: 2-line block ×3, first 2 shown]
	global_load_dwordx4 v[125:128], v[36:37], off offset:1312
	global_load_dwordx4 v[44:47], v[8:9], off offset:48
	;; [unrolled: 1-line block ×4, first 2 shown]
	s_waitcnt vmcnt(3) lgkmcnt(8)
	v_mul_f64 v[8:9], v[50:51], v[127:128]
	v_fma_f64 v[36:37], v[48:49], v[125:126], -v[8:9]
	v_mul_f64 v[8:9], v[48:49], v[127:128]
	v_fma_f64 v[50:51], v[50:51], v[125:126], v[8:9]
	s_waitcnt vmcnt(0) lgkmcnt(7)
	v_mul_f64 v[8:9], v[54:55], v[68:69]
	v_fma_f64 v[40:41], v[52:53], v[66:67], -v[8:9]
	v_mul_f64 v[8:9], v[52:53], v[68:69]
	buffer_store_dword v66, off, s[52:55], 0 offset:460 ; 4-byte Folded Spill
	s_nop 0
	buffer_store_dword v67, off, s[52:55], 0 offset:464 ; 4-byte Folded Spill
	buffer_store_dword v68, off, s[52:55], 0 offset:468 ; 4-byte Folded Spill
	;; [unrolled: 1-line block ×3, first 2 shown]
	v_fma_f64 v[52:53], v[54:55], v[66:67], v[8:9]
	s_waitcnt lgkmcnt(6)
	v_mul_f64 v[8:9], v[58:59], v[86:87]
	v_fma_f64 v[68:69], v[56:57], v[84:85], -v[8:9]
	v_mul_f64 v[8:9], v[56:57], v[86:87]
	buffer_store_dword v84, off, s[52:55], 0 offset:444 ; 4-byte Folded Spill
	s_nop 0
	buffer_store_dword v85, off, s[52:55], 0 offset:448 ; 4-byte Folded Spill
	buffer_store_dword v86, off, s[52:55], 0 offset:452 ; 4-byte Folded Spill
	;; [unrolled: 1-line block ×3, first 2 shown]
	v_fma_f64 v[54:55], v[58:59], v[84:85], v[8:9]
	s_waitcnt lgkmcnt(5)
	v_mul_f64 v[8:9], v[62:63], v[46:47]
	v_fma_f64 v[70:71], v[60:61], v[44:45], -v[8:9]
	v_mul_f64 v[8:9], v[60:61], v[46:47]
	buffer_store_dword v44, off, s[52:55], 0 offset:428 ; 4-byte Folded Spill
	s_nop 0
	buffer_store_dword v45, off, s[52:55], 0 offset:432 ; 4-byte Folded Spill
	buffer_store_dword v46, off, s[52:55], 0 offset:436 ; 4-byte Folded Spill
	;; [unrolled: 1-line block ×3, first 2 shown]
	v_fma_f64 v[56:57], v[62:63], v[44:45], v[8:9]
	v_lshlrev_b32_e32 v8, 6, v42
	v_add_co_u32_e64 v42, s[0:1], s4, v8
	v_addc_co_u32_e64 v43, s[0:1], 0, v43, s[0:1]
	v_add_co_u32_e64 v8, s[0:1], s2, v42
	v_addc_co_u32_e64 v9, s[0:1], 0, v43, s[0:1]
	;; [unrolled: 2-line block ×3, first 2 shown]
	global_load_dwordx4 v[42:45], v[42:43], off offset:1312
	s_nop 0
	global_load_dwordx4 v[84:87], v[8:9], off offset:48
	global_load_dwordx4 v[46:49], v[8:9], off offset:32
	;; [unrolled: 1-line block ×3, first 2 shown]
	s_mov_b32 s4, s12
	s_mov_b32 s2, 0x4755a5e
	;; [unrolled: 1-line block ×6, first 2 shown]
	s_waitcnt vmcnt(3) lgkmcnt(3)
	v_mul_f64 v[8:9], v[28:29], v[44:45]
	v_fma_f64 v[58:59], v[26:27], v[42:43], -v[8:9]
	v_mul_f64 v[8:9], v[26:27], v[44:45]
	buffer_store_dword v42, off, s[52:55], 0 offset:508 ; 4-byte Folded Spill
	s_nop 0
	buffer_store_dword v43, off, s[52:55], 0 offset:512 ; 4-byte Folded Spill
	buffer_store_dword v44, off, s[52:55], 0 offset:516 ; 4-byte Folded Spill
	;; [unrolled: 1-line block ×3, first 2 shown]
	v_add_f64 v[26:27], v[76:77], -v[78:79]
	v_fma_f64 v[42:43], v[28:29], v[42:43], v[8:9]
	s_waitcnt vmcnt(4) lgkmcnt(2)
	v_mul_f64 v[8:9], v[24:25], v[90:91]
	v_add_f64 v[28:29], v[72:73], -v[78:79]
	v_fma_f64 v[60:61], v[22:23], v[88:89], -v[8:9]
	v_mul_f64 v[8:9], v[22:23], v[90:91]
	buffer_store_dword v88, off, s[52:55], 0 offset:524 ; 4-byte Folded Spill
	s_nop 0
	buffer_store_dword v89, off, s[52:55], 0 offset:528 ; 4-byte Folded Spill
	buffer_store_dword v90, off, s[52:55], 0 offset:532 ; 4-byte Folded Spill
	buffer_store_dword v91, off, s[52:55], 0 offset:536 ; 4-byte Folded Spill
	v_add_f64 v[22:23], v[72:73], -v[74:75]
	v_fma_f64 v[44:45], v[24:25], v[88:89], v[8:9]
	s_waitcnt lgkmcnt(1)
	v_mul_f64 v[8:9], v[20:21], v[48:49]
	v_add_f64 v[24:25], v[78:79], -v[76:77]
	v_fma_f64 v[62:63], v[18:19], v[46:47], -v[8:9]
	v_mul_f64 v[8:9], v[18:19], v[48:49]
	buffer_store_dword v46, off, s[52:55], 0 offset:492 ; 4-byte Folded Spill
	s_nop 0
	buffer_store_dword v47, off, s[52:55], 0 offset:496 ; 4-byte Folded Spill
	buffer_store_dword v48, off, s[52:55], 0 offset:500 ; 4-byte Folded Spill
	;; [unrolled: 1-line block ×3, first 2 shown]
	v_add_f64 v[22:23], v[22:23], v[24:25]
	v_add_f64 v[24:25], v[74:75], -v[72:73]
	v_add_f64 v[24:25], v[24:25], v[26:27]
	v_fma_f64 v[46:47], v[20:21], v[46:47], v[8:9]
	s_waitcnt lgkmcnt(0)
	v_mul_f64 v[8:9], v[16:17], v[86:87]
	v_add_f64 v[20:21], v[32:33], -v[34:35]
	v_fma_f64 v[66:67], v[14:15], v[84:85], -v[8:9]
	v_mul_f64 v[8:9], v[14:15], v[86:87]
	buffer_store_dword v84, off, s[52:55], 0 offset:476 ; 4-byte Folded Spill
	s_nop 0
	buffer_store_dword v85, off, s[52:55], 0 offset:480 ; 4-byte Folded Spill
	buffer_store_dword v86, off, s[52:55], 0 offset:484 ; 4-byte Folded Spill
	;; [unrolled: 1-line block ×3, first 2 shown]
	v_add_f64 v[14:15], v[74:75], v[76:77]
	v_fma_f64 v[14:15], v[14:15], -0.5, v[10:11]
	v_fma_f64 v[48:49], v[16:17], v[84:85], v[8:9]
	v_add_f64 v[16:17], v[30:31], -v[38:39]
	v_add_f64 v[8:9], v[10:11], v[72:73]
	v_fma_f64 v[18:19], v[16:17], s[12:13], v[14:15]
	v_fma_f64 v[14:15], v[16:17], s[4:5], v[14:15]
	v_add_f64 v[8:9], v[8:9], v[74:75]
	v_fma_f64 v[18:19], v[20:21], s[2:3], v[18:19]
	v_fma_f64 v[14:15], v[20:21], s[14:15], v[14:15]
	v_add_f64 v[8:9], v[8:9], v[76:77]
	v_fma_f64 v[18:19], v[22:23], s[0:1], v[18:19]
	v_fma_f64 v[14:15], v[22:23], s[0:1], v[14:15]
	v_add_f64 v[22:23], v[72:73], v[78:79]
	v_add_f64 v[72:73], v[74:75], -v[76:77]
	v_add_f64 v[74:75], v[38:39], -v[34:35]
	;; [unrolled: 1-line block ×3, first 2 shown]
	v_add_f64 v[8:9], v[8:9], v[78:79]
	v_fma_f64 v[10:11], v[22:23], -0.5, v[10:11]
	v_fma_f64 v[22:23], v[20:21], s[4:5], v[10:11]
	v_fma_f64 v[10:11], v[20:21], s[12:13], v[10:11]
	;; [unrolled: 1-line block ×4, first 2 shown]
	v_add_f64 v[16:17], v[32:33], v[34:35]
	v_fma_f64 v[22:23], v[24:25], s[0:1], v[22:23]
	v_fma_f64 v[26:27], v[24:25], s[0:1], v[10:11]
	v_fma_f64 v[16:17], v[16:17], -0.5, v[12:13]
	v_add_f64 v[24:25], v[30:31], -v[32:33]
	v_add_f64 v[10:11], v[12:13], v[30:31]
	v_fma_f64 v[20:21], v[28:29], s[4:5], v[16:17]
	v_fma_f64 v[16:17], v[28:29], s[12:13], v[16:17]
	v_add_f64 v[24:25], v[24:25], v[74:75]
	v_add_f64 v[10:11], v[10:11], v[32:33]
	v_add_f64 v[74:75], v[52:53], -v[54:55]
	v_fma_f64 v[20:21], v[72:73], s[14:15], v[20:21]
	v_fma_f64 v[16:17], v[72:73], s[2:3], v[16:17]
	v_add_f64 v[10:11], v[10:11], v[34:35]
	v_fma_f64 v[20:21], v[24:25], s[0:1], v[20:21]
	v_fma_f64 v[16:17], v[24:25], s[0:1], v[16:17]
	v_add_f64 v[24:25], v[30:31], v[38:39]
	v_add_f64 v[30:31], v[32:33], -v[30:31]
	v_add_f64 v[32:33], v[34:35], -v[38:39]
	v_add_f64 v[10:11], v[10:11], v[38:39]
	v_add_f64 v[38:39], v[36:37], -v[40:41]
	v_fma_f64 v[12:13], v[24:25], -0.5, v[12:13]
	v_add_f64 v[30:31], v[30:31], v[32:33]
	v_add_f64 v[32:33], v[50:51], -v[56:57]
	v_fma_f64 v[24:25], v[72:73], s[12:13], v[12:13]
	v_fma_f64 v[12:13], v[72:73], s[4:5], v[12:13]
	v_add_f64 v[72:73], v[70:71], -v[68:69]
	v_fma_f64 v[24:25], v[28:29], s[14:15], v[24:25]
	v_fma_f64 v[12:13], v[28:29], s[2:3], v[12:13]
	v_add_f64 v[72:73], v[38:39], v[72:73]
	v_fma_f64 v[24:25], v[30:31], s[0:1], v[24:25]
	v_fma_f64 v[28:29], v[30:31], s[0:1], v[12:13]
	v_add_f64 v[12:13], v[4:5], v[36:37]
	v_add_f64 v[12:13], v[12:13], v[40:41]
	v_add_f64 v[12:13], v[12:13], v[68:69]
	v_add_f64 v[30:31], v[12:13], v[70:71]
	v_add_f64 v[12:13], v[40:41], v[68:69]
	v_add_f64 v[68:69], v[40:41], -v[68:69]
	v_fma_f64 v[12:13], v[12:13], -0.5, v[4:5]
	v_fma_f64 v[34:35], v[32:33], s[12:13], v[12:13]
	v_fma_f64 v[12:13], v[32:33], s[4:5], v[12:13]
	;; [unrolled: 1-line block ×6, first 2 shown]
	v_add_f64 v[12:13], v[36:37], v[70:71]
	v_add_f64 v[72:73], v[40:41], -v[36:37]
	v_add_f64 v[40:41], v[50:51], -v[52:53]
	v_fma_f64 v[4:5], v[12:13], -0.5, v[4:5]
	v_add_f64 v[76:77], v[72:73], v[76:77]
	v_fma_f64 v[12:13], v[74:75], s[4:5], v[4:5]
	v_fma_f64 v[4:5], v[74:75], s[12:13], v[4:5]
	;; [unrolled: 1-line block ×6, first 2 shown]
	v_add_f64 v[4:5], v[6:7], v[50:51]
	v_add_f64 v[12:13], v[36:37], -v[70:71]
	v_add_f64 v[70:71], v[56:57], -v[54:55]
	v_add_f64 v[4:5], v[4:5], v[52:53]
	v_add_f64 v[70:71], v[40:41], v[70:71]
	;; [unrolled: 1-line block ×5, first 2 shown]
	v_fma_f64 v[4:5], v[4:5], -0.5, v[6:7]
	v_fma_f64 v[36:37], v[12:13], s[4:5], v[4:5]
	v_fma_f64 v[4:5], v[12:13], s[12:13], v[4:5]
	;; [unrolled: 1-line block ×6, first 2 shown]
	v_add_f64 v[4:5], v[50:51], v[56:57]
	v_add_f64 v[50:51], v[52:53], -v[50:51]
	v_add_f64 v[52:53], v[54:55], -v[56:57]
	;; [unrolled: 1-line block ×4, first 2 shown]
	v_fma_f64 v[4:5], v[4:5], -0.5, v[6:7]
	v_add_f64 v[50:51], v[50:51], v[52:53]
	v_add_f64 v[52:53], v[44:45], -v[46:47]
	v_add_f64 v[56:57], v[54:55], v[56:57]
	v_fma_f64 v[6:7], v[68:69], s[12:13], v[4:5]
	v_fma_f64 v[4:5], v[68:69], s[4:5], v[4:5]
	v_add_f64 v[68:69], v[62:63], -v[66:67]
	v_fma_f64 v[6:7], v[12:13], s[14:15], v[6:7]
	v_fma_f64 v[4:5], v[12:13], s[2:3], v[4:5]
	;; [unrolled: 1-line block ×4, first 2 shown]
	v_add_f64 v[4:5], v[0:1], v[58:59]
	v_add_f64 v[6:7], v[42:43], -v[48:49]
	v_add_f64 v[4:5], v[4:5], v[60:61]
	v_add_f64 v[4:5], v[4:5], v[62:63]
	;; [unrolled: 1-line block ×4, first 2 shown]
	v_fma_f64 v[4:5], v[4:5], -0.5, v[0:1]
	v_fma_f64 v[12:13], v[6:7], s[12:13], v[4:5]
	v_fma_f64 v[4:5], v[6:7], s[4:5], v[4:5]
	;; [unrolled: 1-line block ×5, first 2 shown]
	v_add_f64 v[12:13], v[58:59], v[66:67]
	v_fma_f64 v[4:5], v[56:57], s[0:1], v[4:5]
	v_add_f64 v[56:57], v[60:61], -v[58:59]
	v_fma_f64 v[0:1], v[12:13], -0.5, v[0:1]
	v_add_f64 v[56:57], v[56:57], v[68:69]
	v_fma_f64 v[12:13], v[52:53], s[4:5], v[0:1]
	v_fma_f64 v[0:1], v[52:53], s[12:13], v[0:1]
	;; [unrolled: 1-line block ×4, first 2 shown]
	v_add_f64 v[6:7], v[2:3], v[42:43]
	v_fma_f64 v[68:69], v[56:57], s[0:1], v[12:13]
	v_add_f64 v[12:13], v[58:59], -v[66:67]
	v_add_f64 v[6:7], v[6:7], v[44:45]
	v_fma_f64 v[0:1], v[56:57], s[0:1], v[0:1]
	v_add_f64 v[58:59], v[60:61], -v[62:63]
	v_add_f64 v[60:61], v[42:43], -v[44:45]
	;; [unrolled: 1-line block ×3, first 2 shown]
	v_add_f64 v[6:7], v[6:7], v[46:47]
	v_add_f64 v[60:61], v[60:61], v[62:63]
	;; [unrolled: 1-line block ×4, first 2 shown]
	v_fma_f64 v[6:7], v[6:7], -0.5, v[2:3]
	v_fma_f64 v[56:57], v[12:13], s[4:5], v[6:7]
	v_fma_f64 v[6:7], v[12:13], s[12:13], v[6:7]
	;; [unrolled: 1-line block ×6, first 2 shown]
	v_add_f64 v[60:61], v[42:43], v[48:49]
	v_add_f64 v[42:43], v[44:45], -v[42:43]
	v_add_f64 v[44:45], v[46:47], -v[48:49]
	v_fma_f64 v[2:3], v[60:61], -0.5, v[2:3]
	v_add_f64 v[42:43], v[42:43], v[44:45]
	v_fma_f64 v[60:61], v[58:59], s[12:13], v[2:3]
	v_fma_f64 v[2:3], v[58:59], s[4:5], v[2:3]
	s_movk_i32 s4, 0x6000
	v_fma_f64 v[60:61], v[12:13], s[14:15], v[60:61]
	v_fma_f64 v[2:3], v[12:13], s[2:3], v[2:3]
	;; [unrolled: 1-line block ×4, first 2 shown]
	s_movk_i32 s0, 0x6db0
	ds_write_b128 v80, v[8:11]
	ds_write_b128 v80, v[18:21] offset:5616
	ds_write_b128 v80, v[22:25] offset:11232
	;; [unrolled: 1-line block ×14, first 2 shown]
	v_add_co_u32_e64 v8, s[0:1], s0, v64
	v_addc_co_u32_e64 v9, s[0:1], 0, v83, s[0:1]
	v_add_co_u32_e64 v14, s[0:1], s4, v64
	v_addc_co_u32_e64 v15, s[0:1], 0, v83, s[0:1]
	s_waitcnt vmcnt(0) lgkmcnt(0)
	s_barrier
	global_load_dwordx4 v[14:17], v[14:15], off offset:3504
	ds_read_b128 v[10:13], v80
	s_movk_i32 s0, 0x7000
	s_waitcnt vmcnt(0) lgkmcnt(0)
	v_mul_f64 v[18:19], v[12:13], v[16:17]
	v_fma_f64 v[18:19], v[10:11], v[14:15], -v[18:19]
	v_mul_f64 v[10:11], v[10:11], v[16:17]
	v_fma_f64 v[20:21], v[12:13], v[14:15], v[10:11]
	global_load_dwordx4 v[14:17], v[8:9], off offset:2160
	ds_read_b128 v[10:13], v80 offset:2160
	ds_write_b128 v80, v[18:21]
	s_waitcnt vmcnt(0) lgkmcnt(1)
	v_mul_f64 v[18:19], v[12:13], v[16:17]
	v_fma_f64 v[18:19], v[10:11], v[14:15], -v[18:19]
	v_mul_f64 v[10:11], v[10:11], v[16:17]
	v_fma_f64 v[20:21], v[12:13], v[14:15], v[10:11]
	v_add_co_u32_e64 v14, s[0:1], s0, v64
	v_addc_co_u32_e64 v15, s[0:1], 0, v83, s[0:1]
	global_load_dwordx4 v[14:17], v[14:15], off offset:3728
	ds_read_b128 v[10:13], v80 offset:4320
	s_mov_b32 s0, 0x8000
	ds_write_b128 v80, v[18:21] offset:2160
	v_add_co_u32_e64 v22, s[0:1], s0, v64
	v_addc_co_u32_e64 v23, s[0:1], 0, v83, s[0:1]
	s_mov_b32 s0, 0x9000
	s_waitcnt vmcnt(0) lgkmcnt(1)
	v_mul_f64 v[18:19], v[12:13], v[16:17]
	v_fma_f64 v[18:19], v[10:11], v[14:15], -v[18:19]
	v_mul_f64 v[10:11], v[10:11], v[16:17]
	v_fma_f64 v[20:21], v[12:13], v[14:15], v[10:11]
	global_load_dwordx4 v[14:17], v[22:23], off offset:1792
	ds_read_b128 v[10:13], v80 offset:6480
	ds_write_b128 v80, v[18:21] offset:4320
	s_waitcnt vmcnt(0) lgkmcnt(1)
	v_mul_f64 v[18:19], v[12:13], v[16:17]
	v_fma_f64 v[18:19], v[10:11], v[14:15], -v[18:19]
	v_mul_f64 v[10:11], v[10:11], v[16:17]
	v_fma_f64 v[20:21], v[12:13], v[14:15], v[10:11]
	global_load_dwordx4 v[14:17], v[22:23], off offset:3952
	ds_read_b128 v[10:13], v80 offset:8640
	ds_write_b128 v80, v[18:21] offset:6480
	s_waitcnt vmcnt(0) lgkmcnt(1)
	v_mul_f64 v[18:19], v[12:13], v[16:17]
	v_fma_f64 v[18:19], v[10:11], v[14:15], -v[18:19]
	v_mul_f64 v[10:11], v[10:11], v[16:17]
	v_fma_f64 v[20:21], v[12:13], v[14:15], v[10:11]
	v_add_co_u32_e64 v14, s[0:1], s0, v64
	v_addc_co_u32_e64 v15, s[0:1], 0, v83, s[0:1]
	global_load_dwordx4 v[14:17], v[14:15], off offset:2016
	ds_read_b128 v[10:13], v80 offset:10800
	s_mov_b32 s0, 0xa000
	ds_write_b128 v80, v[18:21] offset:8640
	v_add_co_u32_e64 v22, s[0:1], s0, v64
	v_addc_co_u32_e64 v23, s[0:1], 0, v83, s[0:1]
	s_mov_b32 s0, 0xb000
	s_waitcnt vmcnt(0) lgkmcnt(1)
	v_mul_f64 v[18:19], v[12:13], v[16:17]
	v_fma_f64 v[18:19], v[10:11], v[14:15], -v[18:19]
	v_mul_f64 v[10:11], v[10:11], v[16:17]
	v_fma_f64 v[20:21], v[12:13], v[14:15], v[10:11]
	global_load_dwordx4 v[14:17], v[22:23], off offset:80
	ds_read_b128 v[10:13], v80 offset:12960
	ds_write_b128 v80, v[18:21] offset:10800
	s_waitcnt vmcnt(0) lgkmcnt(1)
	v_mul_f64 v[18:19], v[12:13], v[16:17]
	v_fma_f64 v[18:19], v[10:11], v[14:15], -v[18:19]
	v_mul_f64 v[10:11], v[10:11], v[16:17]
	v_fma_f64 v[20:21], v[12:13], v[14:15], v[10:11]
	global_load_dwordx4 v[14:17], v[22:23], off offset:2240
	ds_read_b128 v[10:13], v80 offset:15120
	v_add_co_u32_e64 v22, s[0:1], s0, v64
	v_addc_co_u32_e64 v23, s[0:1], 0, v83, s[0:1]
	s_mov_b32 s0, 0xc000
	ds_write_b128 v80, v[18:21] offset:12960
	s_waitcnt vmcnt(0) lgkmcnt(1)
	v_mul_f64 v[18:19], v[12:13], v[16:17]
	v_fma_f64 v[18:19], v[10:11], v[14:15], -v[18:19]
	v_mul_f64 v[10:11], v[10:11], v[16:17]
	v_fma_f64 v[20:21], v[12:13], v[14:15], v[10:11]
	global_load_dwordx4 v[14:17], v[22:23], off offset:304
	ds_read_b128 v[10:13], v80 offset:17280
	ds_write_b128 v80, v[18:21] offset:15120
	s_waitcnt vmcnt(0) lgkmcnt(1)
	v_mul_f64 v[18:19], v[12:13], v[16:17]
	v_fma_f64 v[18:19], v[10:11], v[14:15], -v[18:19]
	v_mul_f64 v[10:11], v[10:11], v[16:17]
	v_fma_f64 v[20:21], v[12:13], v[14:15], v[10:11]
	global_load_dwordx4 v[14:17], v[22:23], off offset:2464
	ds_read_b128 v[10:13], v80 offset:19440
	v_add_co_u32_e64 v22, s[0:1], s0, v64
	v_addc_co_u32_e64 v23, s[0:1], 0, v83, s[0:1]
	s_mov_b32 s0, 0xd000
	ds_write_b128 v80, v[18:21] offset:17280
	s_waitcnt vmcnt(0) lgkmcnt(1)
	v_mul_f64 v[18:19], v[12:13], v[16:17]
	v_fma_f64 v[18:19], v[10:11], v[14:15], -v[18:19]
	v_mul_f64 v[10:11], v[10:11], v[16:17]
	v_fma_f64 v[20:21], v[12:13], v[14:15], v[10:11]
	global_load_dwordx4 v[14:17], v[22:23], off offset:528
	ds_read_b128 v[10:13], v80 offset:21600
	ds_write_b128 v80, v[18:21] offset:19440
	s_waitcnt vmcnt(0) lgkmcnt(1)
	v_mul_f64 v[18:19], v[12:13], v[16:17]
	v_fma_f64 v[18:19], v[10:11], v[14:15], -v[18:19]
	v_mul_f64 v[10:11], v[10:11], v[16:17]
	v_fma_f64 v[20:21], v[12:13], v[14:15], v[10:11]
	global_load_dwordx4 v[14:17], v[22:23], off offset:2688
	ds_read_b128 v[10:13], v80 offset:23760
	ds_write_b128 v80, v[18:21] offset:21600
	s_waitcnt vmcnt(0) lgkmcnt(1)
	v_mul_f64 v[18:19], v[12:13], v[16:17]
	v_fma_f64 v[18:19], v[10:11], v[14:15], -v[18:19]
	v_mul_f64 v[10:11], v[10:11], v[16:17]
	v_fma_f64 v[20:21], v[12:13], v[14:15], v[10:11]
	v_add_co_u32_e64 v14, s[0:1], s0, v64
	v_addc_co_u32_e64 v15, s[0:1], 0, v83, s[0:1]
	global_load_dwordx4 v[14:17], v[14:15], off offset:752
	ds_read_b128 v[10:13], v80 offset:25920
	ds_write_b128 v80, v[18:21] offset:23760
	s_waitcnt vmcnt(0) lgkmcnt(1)
	v_mul_f64 v[18:19], v[12:13], v[16:17]
	v_fma_f64 v[18:19], v[10:11], v[14:15], -v[18:19]
	v_mul_f64 v[10:11], v[10:11], v[16:17]
	v_fma_f64 v[20:21], v[12:13], v[14:15], v[10:11]
	ds_write_b128 v80, v[18:21] offset:25920
	s_and_saveexec_b64 s[2:3], vcc
	s_cbranch_execz .LBB0_9
; %bb.8:
	global_load_dwordx4 v[14:17], v[8:9], off offset:1872
	ds_read_b128 v[10:13], v80 offset:1872
	s_waitcnt vmcnt(0) lgkmcnt(0)
	v_mul_f64 v[18:19], v[12:13], v[16:17]
	v_fma_f64 v[18:19], v[10:11], v[14:15], -v[18:19]
	v_mul_f64 v[10:11], v[10:11], v[16:17]
	v_fma_f64 v[20:21], v[12:13], v[14:15], v[10:11]
	global_load_dwordx4 v[14:17], v[8:9], off offset:4032
	ds_read_b128 v[10:13], v80 offset:4032
	ds_write_b128 v80, v[18:21] offset:1872
	s_waitcnt vmcnt(0) lgkmcnt(1)
	v_mul_f64 v[18:19], v[12:13], v[16:17]
	v_fma_f64 v[18:19], v[10:11], v[14:15], -v[18:19]
	v_mul_f64 v[10:11], v[10:11], v[16:17]
	v_fma_f64 v[20:21], v[12:13], v[14:15], v[10:11]
	v_add_co_u32_e64 v14, s[0:1], s16, v8
	v_addc_co_u32_e64 v15, s[0:1], 0, v9, s[0:1]
	global_load_dwordx4 v[14:17], v[14:15], off offset:2096
	ds_read_b128 v[10:13], v80 offset:6192
	s_movk_i32 s0, 0x2000
	ds_write_b128 v80, v[18:21] offset:4032
	v_add_co_u32_e64 v22, s[0:1], s0, v8
	v_addc_co_u32_e64 v23, s[0:1], 0, v9, s[0:1]
	s_movk_i32 s0, 0x3000
	s_waitcnt vmcnt(0) lgkmcnt(1)
	v_mul_f64 v[18:19], v[12:13], v[16:17]
	v_fma_f64 v[18:19], v[10:11], v[14:15], -v[18:19]
	v_mul_f64 v[10:11], v[10:11], v[16:17]
	v_fma_f64 v[20:21], v[12:13], v[14:15], v[10:11]
	global_load_dwordx4 v[14:17], v[22:23], off offset:160
	ds_read_b128 v[10:13], v80 offset:8352
	ds_write_b128 v80, v[18:21] offset:6192
	s_waitcnt vmcnt(0) lgkmcnt(1)
	v_mul_f64 v[18:19], v[12:13], v[16:17]
	v_fma_f64 v[18:19], v[10:11], v[14:15], -v[18:19]
	v_mul_f64 v[10:11], v[10:11], v[16:17]
	v_fma_f64 v[20:21], v[12:13], v[14:15], v[10:11]
	global_load_dwordx4 v[14:17], v[22:23], off offset:2320
	ds_read_b128 v[10:13], v80 offset:10512
	v_add_co_u32_e64 v22, s[0:1], s0, v8
	v_addc_co_u32_e64 v23, s[0:1], 0, v9, s[0:1]
	s_movk_i32 s0, 0x4000
	ds_write_b128 v80, v[18:21] offset:8352
	s_waitcnt vmcnt(0) lgkmcnt(1)
	v_mul_f64 v[18:19], v[12:13], v[16:17]
	v_fma_f64 v[18:19], v[10:11], v[14:15], -v[18:19]
	v_mul_f64 v[10:11], v[10:11], v[16:17]
	v_fma_f64 v[20:21], v[12:13], v[14:15], v[10:11]
	global_load_dwordx4 v[14:17], v[22:23], off offset:384
	ds_read_b128 v[10:13], v80 offset:12672
	ds_write_b128 v80, v[18:21] offset:10512
	s_waitcnt vmcnt(0) lgkmcnt(1)
	v_mul_f64 v[18:19], v[12:13], v[16:17]
	v_fma_f64 v[18:19], v[10:11], v[14:15], -v[18:19]
	v_mul_f64 v[10:11], v[10:11], v[16:17]
	v_fma_f64 v[20:21], v[12:13], v[14:15], v[10:11]
	global_load_dwordx4 v[14:17], v[22:23], off offset:2544
	ds_read_b128 v[10:13], v80 offset:14832
	v_add_co_u32_e64 v22, s[0:1], s0, v8
	v_addc_co_u32_e64 v23, s[0:1], 0, v9, s[0:1]
	s_movk_i32 s0, 0x5000
	ds_write_b128 v80, v[18:21] offset:12672
	s_waitcnt vmcnt(0) lgkmcnt(1)
	v_mul_f64 v[18:19], v[12:13], v[16:17]
	v_fma_f64 v[18:19], v[10:11], v[14:15], -v[18:19]
	v_mul_f64 v[10:11], v[10:11], v[16:17]
	v_fma_f64 v[20:21], v[12:13], v[14:15], v[10:11]
	global_load_dwordx4 v[14:17], v[22:23], off offset:608
	ds_read_b128 v[10:13], v80 offset:16992
	ds_write_b128 v80, v[18:21] offset:14832
	s_waitcnt vmcnt(0) lgkmcnt(1)
	v_mul_f64 v[18:19], v[12:13], v[16:17]
	v_fma_f64 v[18:19], v[10:11], v[14:15], -v[18:19]
	v_mul_f64 v[10:11], v[10:11], v[16:17]
	v_fma_f64 v[20:21], v[12:13], v[14:15], v[10:11]
	global_load_dwordx4 v[14:17], v[22:23], off offset:2768
	ds_read_b128 v[10:13], v80 offset:19152
	v_add_co_u32_e64 v22, s[0:1], s0, v8
	v_addc_co_u32_e64 v23, s[0:1], 0, v9, s[0:1]
	ds_write_b128 v80, v[18:21] offset:16992
	s_waitcnt vmcnt(0) lgkmcnt(1)
	v_mul_f64 v[18:19], v[12:13], v[16:17]
	v_fma_f64 v[18:19], v[10:11], v[14:15], -v[18:19]
	v_mul_f64 v[10:11], v[10:11], v[16:17]
	v_fma_f64 v[20:21], v[12:13], v[14:15], v[10:11]
	global_load_dwordx4 v[14:17], v[22:23], off offset:832
	ds_read_b128 v[10:13], v80 offset:21312
	ds_write_b128 v80, v[18:21] offset:19152
	s_waitcnt vmcnt(0) lgkmcnt(1)
	v_mul_f64 v[18:19], v[12:13], v[16:17]
	v_fma_f64 v[18:19], v[10:11], v[14:15], -v[18:19]
	v_mul_f64 v[10:11], v[10:11], v[16:17]
	v_fma_f64 v[20:21], v[12:13], v[14:15], v[10:11]
	global_load_dwordx4 v[14:17], v[22:23], off offset:2992
	ds_read_b128 v[10:13], v80 offset:23472
	ds_write_b128 v80, v[18:21] offset:21312
	s_waitcnt vmcnt(0) lgkmcnt(1)
	v_mul_f64 v[18:19], v[12:13], v[16:17]
	v_fma_f64 v[18:19], v[10:11], v[14:15], -v[18:19]
	v_mul_f64 v[10:11], v[10:11], v[16:17]
	v_fma_f64 v[20:21], v[12:13], v[14:15], v[10:11]
	ds_read_b128 v[10:13], v80 offset:25632
	ds_write_b128 v80, v[18:21] offset:23472
	v_add_co_u32_e64 v18, s[0:1], s4, v8
	v_addc_co_u32_e64 v19, s[0:1], 0, v9, s[0:1]
	global_load_dwordx4 v[14:17], v[18:19], off offset:1056
	s_waitcnt vmcnt(0) lgkmcnt(1)
	v_mul_f64 v[8:9], v[12:13], v[16:17]
	v_fma_f64 v[8:9], v[10:11], v[14:15], -v[8:9]
	v_mul_f64 v[10:11], v[10:11], v[16:17]
	v_fma_f64 v[10:11], v[12:13], v[14:15], v[10:11]
	global_load_dwordx4 v[12:15], v[18:19], off offset:3216
	ds_write_b128 v80, v[8:11] offset:25632
	ds_read_b128 v[8:11], v80 offset:27792
	s_waitcnt vmcnt(0) lgkmcnt(0)
	v_mul_f64 v[16:17], v[10:11], v[14:15]
	v_fma_f64 v[16:17], v[8:9], v[12:13], -v[16:17]
	v_mul_f64 v[8:9], v[8:9], v[14:15]
	v_fma_f64 v[18:19], v[10:11], v[12:13], v[8:9]
	ds_write_b128 v80, v[16:19] offset:27792
.LBB0_9:
	s_or_b64 exec, exec, s[2:3]
	s_waitcnt lgkmcnt(0)
	s_barrier
	ds_read_b128 v[52:55], v80
	ds_read_b128 v[56:59], v80 offset:2160
	ds_read_b128 v[44:47], v80 offset:4320
	ds_read_b128 v[36:39], v80 offset:6480
	ds_read_b128 v[28:31], v80 offset:8640
	ds_read_b128 v[20:23], v80 offset:10800
	ds_read_b128 v[8:11], v80 offset:12960
	ds_read_b128 v[12:15], v80 offset:15120
	ds_read_b128 v[24:27], v80 offset:17280
	ds_read_b128 v[32:35], v80 offset:19440
	ds_read_b128 v[40:43], v80 offset:21600
	ds_read_b128 v[48:51], v80 offset:23760
	ds_read_b128 v[60:63], v80 offset:25920
	s_and_saveexec_b64 s[0:1], vcc
	s_cbranch_execz .LBB0_11
; %bb.10:
	ds_read_b128 v[0:3], v80 offset:1872
	ds_read_b128 v[4:7], v80 offset:4032
	ds_read_b128 v[16:19], v80 offset:6192
	s_waitcnt lgkmcnt(0)
	buffer_store_dword v16, off, s[52:55], 0 ; 4-byte Folded Spill
	s_nop 0
	buffer_store_dword v17, off, s[52:55], 0 offset:4 ; 4-byte Folded Spill
	buffer_store_dword v18, off, s[52:55], 0 offset:8 ; 4-byte Folded Spill
	buffer_store_dword v19, off, s[52:55], 0 offset:12 ; 4-byte Folded Spill
	ds_read_b128 v[16:19], v80 offset:8352
	s_waitcnt lgkmcnt(0)
	buffer_store_dword v16, off, s[52:55], 0 offset:32 ; 4-byte Folded Spill
	s_nop 0
	buffer_store_dword v17, off, s[52:55], 0 offset:36 ; 4-byte Folded Spill
	buffer_store_dword v18, off, s[52:55], 0 offset:40 ; 4-byte Folded Spill
	buffer_store_dword v19, off, s[52:55], 0 offset:44 ; 4-byte Folded Spill
	ds_read_b128 v[16:19], v80 offset:10512
	s_waitcnt lgkmcnt(0)
	buffer_store_dword v16, off, s[52:55], 0 offset:64 ; 4-byte Folded Spill
	;; [unrolled: 7-line block ×10, first 2 shown]
	s_nop 0
	buffer_store_dword v17, off, s[52:55], 0 offset:20 ; 4-byte Folded Spill
	buffer_store_dword v18, off, s[52:55], 0 offset:24 ; 4-byte Folded Spill
	;; [unrolled: 1-line block ×3, first 2 shown]
.LBB0_11:
	s_or_b64 exec, exec, s[0:1]
	s_waitcnt lgkmcnt(11)
	v_add_f64 v[16:17], v[52:53], v[56:57]
	v_add_f64 v[18:19], v[54:55], v[58:59]
	s_waitcnt lgkmcnt(0)
	v_add_f64 v[68:69], v[58:59], v[62:63]
	v_add_f64 v[58:59], v[58:59], -v[62:63]
	s_mov_b32 s2, 0x4267c47c
	s_mov_b32 s12, 0x42a4c3d2
	;; [unrolled: 1-line block ×4, first 2 shown]
	v_add_f64 v[16:17], v[16:17], v[44:45]
	v_add_f64 v[18:19], v[18:19], v[46:47]
	s_mov_b32 s34, 0x4bc48dbf
	s_mov_b32 s3, 0xbfddbe06
	;; [unrolled: 1-line block ×6, first 2 shown]
	v_add_f64 v[16:17], v[16:17], v[36:37]
	v_add_f64 v[18:19], v[18:19], v[38:39]
	;; [unrolled: 1-line block ×3, first 2 shown]
	v_add_f64 v[56:57], v[56:57], -v[60:61]
	v_mul_f64 v[74:75], v[58:59], s[12:13]
	v_mul_f64 v[85:86], v[58:59], s[16:17]
	;; [unrolled: 1-line block ×4, first 2 shown]
	v_add_f64 v[16:17], v[16:17], v[28:29]
	v_add_f64 v[18:19], v[18:19], v[30:31]
	s_mov_b32 s0, 0xe00740e9
	s_mov_b32 s4, 0x1ea71119
	;; [unrolled: 1-line block ×6, first 2 shown]
	v_add_f64 v[16:17], v[16:17], v[20:21]
	v_add_f64 v[18:19], v[18:19], v[22:23]
	s_mov_b32 s5, 0x3fe22d96
	s_mov_b32 s15, 0x3fbedb7d
	;; [unrolled: 1-line block ×4, first 2 shown]
	v_mul_f64 v[70:71], v[68:69], s[0:1]
	v_fma_f64 v[76:77], v[66:67], s[4:5], v[74:75]
	v_add_f64 v[16:17], v[16:17], v[8:9]
	v_add_f64 v[18:19], v[18:19], v[10:11]
	v_mul_f64 v[78:79], v[68:69], s[4:5]
	v_fma_f64 v[74:75], v[66:67], s[4:5], -v[74:75]
	v_fma_f64 v[87:88], v[66:67], s[14:15], v[85:86]
	v_mul_f64 v[89:90], v[68:69], s[14:15]
	v_fma_f64 v[85:86], v[66:67], s[14:15], -v[85:86]
	v_fma_f64 v[95:96], v[66:67], s[18:19], v[93:94]
	v_add_f64 v[16:17], v[16:17], v[12:13]
	v_add_f64 v[18:19], v[18:19], v[14:15]
	v_mul_f64 v[97:98], v[68:69], s[18:19]
	v_fma_f64 v[93:94], v[66:67], s[18:19], -v[93:94]
	v_fma_f64 v[103:104], v[66:67], s[22:23], v[101:102]
	v_mul_f64 v[105:106], v[68:69], s[22:23]
	v_fma_f64 v[101:102], v[66:67], s[22:23], -v[101:102]
	v_mul_f64 v[68:69], v[68:69], s[30:31]
	v_add_f64 v[16:17], v[16:17], v[24:25]
	v_add_f64 v[18:19], v[18:19], v[26:27]
	s_mov_b32 s25, 0x3fddbe06
	s_mov_b32 s24, s2
	;; [unrolled: 1-line block ×6, first 2 shown]
	v_add_f64 v[16:17], v[16:17], v[32:33]
	v_add_f64 v[18:19], v[18:19], v[34:35]
	s_mov_b32 s39, 0x3fedeba7
	s_mov_b32 s38, s20
	;; [unrolled: 1-line block ×5, first 2 shown]
	v_fma_f64 v[72:73], v[56:57], s[24:25], v[70:71]
	v_add_f64 v[16:17], v[16:17], v[40:41]
	v_add_f64 v[18:19], v[18:19], v[42:43]
	v_fma_f64 v[70:71], v[56:57], s[2:3], v[70:71]
	v_add_f64 v[76:77], v[52:53], v[76:77]
	v_fma_f64 v[83:84], v[56:57], s[36:37], v[78:79]
	;; [unrolled: 2-line block ×3, first 2 shown]
	v_add_f64 v[87:88], v[52:53], v[87:88]
	v_add_f64 v[16:17], v[16:17], v[48:49]
	;; [unrolled: 1-line block ×3, first 2 shown]
	v_fma_f64 v[91:92], v[56:57], s[28:29], v[89:90]
	v_add_f64 v[85:86], v[52:53], v[85:86]
	v_fma_f64 v[89:90], v[56:57], s[16:17], v[89:90]
	v_add_f64 v[95:96], v[52:53], v[95:96]
	;; [unrolled: 2-line block ×3, first 2 shown]
	v_add_f64 v[16:17], v[16:17], v[60:61]
	v_mul_f64 v[60:61], v[58:59], s[2:3]
	v_mul_f64 v[58:59], v[58:59], s[34:35]
	v_add_f64 v[18:19], v[18:19], v[62:63]
	v_fma_f64 v[97:98], v[56:57], s[20:21], v[97:98]
	v_add_f64 v[103:104], v[52:53], v[103:104]
	v_fma_f64 v[107:108], v[56:57], s[40:41], v[105:106]
	;; [unrolled: 2-line block ×3, first 2 shown]
	v_fma_f64 v[62:63], v[66:67], s[0:1], v[60:61]
	v_fma_f64 v[60:61], v[66:67], s[0:1], -v[60:61]
	v_fma_f64 v[109:110], v[66:67], s[30:31], v[58:59]
	v_fma_f64 v[58:59], v[66:67], s[30:31], -v[58:59]
	v_fma_f64 v[111:112], v[56:57], s[42:43], v[68:69]
	v_fma_f64 v[56:57], v[56:57], s[34:35], v[68:69]
	v_add_f64 v[72:73], v[54:55], v[72:73]
	v_add_f64 v[70:71], v[54:55], v[70:71]
	v_add_f64 v[62:63], v[52:53], v[62:63]
	v_add_f64 v[60:61], v[52:53], v[60:61]
	v_add_f64 v[109:110], v[52:53], v[109:110]
	v_add_f64 v[52:53], v[52:53], v[58:59]
	v_add_f64 v[58:59], v[46:47], v[50:51]
	v_add_f64 v[46:47], v[46:47], -v[50:51]
	v_add_f64 v[83:84], v[54:55], v[83:84]
	v_add_f64 v[78:79], v[54:55], v[78:79]
	v_add_f64 v[91:92], v[54:55], v[91:92]
	v_add_f64 v[89:90], v[54:55], v[89:90]
	v_add_f64 v[99:100], v[54:55], v[99:100]
	v_add_f64 v[97:98], v[54:55], v[97:98]
	v_add_f64 v[107:108], v[54:55], v[107:108]
	v_add_f64 v[105:106], v[54:55], v[105:106]
	v_add_f64 v[111:112], v[54:55], v[111:112]
	v_add_f64 v[54:55], v[54:55], v[56:57]
	v_add_f64 v[56:57], v[44:45], v[48:49]
	v_add_f64 v[44:45], v[44:45], -v[48:49]
	v_mul_f64 v[48:49], v[46:47], s[12:13]
	s_waitcnt vmcnt(0)
	s_barrier
	v_fma_f64 v[50:51], v[56:57], s[4:5], v[48:49]
	v_fma_f64 v[48:49], v[56:57], s[4:5], -v[48:49]
	v_add_f64 v[50:51], v[50:51], v[62:63]
	v_mul_f64 v[62:63], v[58:59], s[4:5]
	v_add_f64 v[48:49], v[48:49], v[60:61]
	v_fma_f64 v[66:67], v[44:45], s[36:37], v[62:63]
	v_fma_f64 v[60:61], v[44:45], s[12:13], v[62:63]
	v_mul_f64 v[62:63], v[46:47], s[20:21]
	v_add_f64 v[66:67], v[66:67], v[72:73]
	v_add_f64 v[60:61], v[60:61], v[70:71]
	v_fma_f64 v[68:69], v[56:57], s[18:19], v[62:63]
	v_mul_f64 v[70:71], v[58:59], s[18:19]
	v_fma_f64 v[62:63], v[56:57], s[18:19], -v[62:63]
	v_add_f64 v[68:69], v[68:69], v[76:77]
	v_fma_f64 v[72:73], v[44:45], s[38:39], v[70:71]
	v_add_f64 v[62:63], v[62:63], v[74:75]
	v_fma_f64 v[70:71], v[44:45], s[20:21], v[70:71]
	v_mul_f64 v[74:75], v[46:47], s[34:35]
	v_add_f64 v[72:73], v[72:73], v[83:84]
	v_add_f64 v[70:71], v[70:71], v[78:79]
	v_fma_f64 v[76:77], v[56:57], s[30:31], v[74:75]
	v_mul_f64 v[78:79], v[58:59], s[30:31]
	v_fma_f64 v[74:75], v[56:57], s[30:31], -v[74:75]
	v_add_f64 v[76:77], v[76:77], v[87:88]
	v_fma_f64 v[83:84], v[44:45], s[42:43], v[78:79]
	v_add_f64 v[74:75], v[74:75], v[85:86]
	;; [unrolled: 10-line block ×3, first 2 shown]
	v_fma_f64 v[89:90], v[44:45], s[40:41], v[89:90]
	v_mul_f64 v[93:94], v[46:47], s[28:29]
	v_mul_f64 v[46:47], v[46:47], s[24:25]
	v_add_f64 v[91:92], v[91:92], v[99:100]
	v_add_f64 v[89:90], v[89:90], v[97:98]
	v_fma_f64 v[95:96], v[56:57], s[14:15], v[93:94]
	v_mul_f64 v[97:98], v[58:59], s[14:15]
	v_mul_f64 v[58:59], v[58:59], s[0:1]
	v_fma_f64 v[93:94], v[56:57], s[14:15], -v[93:94]
	v_add_f64 v[95:96], v[95:96], v[103:104]
	v_fma_f64 v[99:100], v[44:45], s[16:17], v[97:98]
	v_fma_f64 v[97:98], v[44:45], s[28:29], v[97:98]
	;; [unrolled: 1-line block ×4, first 2 shown]
	v_add_f64 v[93:94], v[93:94], v[101:102]
	v_fma_f64 v[101:102], v[56:57], s[0:1], v[46:47]
	v_fma_f64 v[46:47], v[56:57], s[0:1], -v[46:47]
	v_add_f64 v[99:100], v[99:100], v[107:108]
	v_add_f64 v[97:98], v[97:98], v[105:106]
	;; [unrolled: 1-line block ×5, first 2 shown]
	v_add_f64 v[38:39], v[38:39], -v[42:43]
	v_add_f64 v[46:47], v[46:47], v[52:53]
	v_add_f64 v[52:53], v[36:37], v[40:41]
	v_add_f64 v[36:37], v[36:37], -v[40:41]
	v_add_f64 v[101:102], v[101:102], v[109:110]
	v_mul_f64 v[40:41], v[38:39], s[16:17]
	v_fma_f64 v[42:43], v[52:53], s[14:15], v[40:41]
	v_fma_f64 v[40:41], v[52:53], s[14:15], -v[40:41]
	v_add_f64 v[42:43], v[42:43], v[50:51]
	v_mul_f64 v[50:51], v[54:55], s[14:15]
	v_add_f64 v[40:41], v[40:41], v[48:49]
	v_fma_f64 v[56:57], v[36:37], s[28:29], v[50:51]
	v_fma_f64 v[48:49], v[36:37], s[16:17], v[50:51]
	v_mul_f64 v[50:51], v[38:39], s[34:35]
	v_add_f64 v[56:57], v[56:57], v[66:67]
	v_add_f64 v[48:49], v[48:49], v[60:61]
	v_fma_f64 v[58:59], v[52:53], s[30:31], v[50:51]
	v_fma_f64 v[50:51], v[52:53], s[30:31], -v[50:51]
	v_mul_f64 v[60:61], v[54:55], s[30:31]
	v_add_f64 v[58:59], v[58:59], v[68:69]
	v_add_f64 v[50:51], v[50:51], v[62:63]
	v_mul_f64 v[62:63], v[38:39], s[38:39]
	v_fma_f64 v[66:67], v[36:37], s[42:43], v[60:61]
	v_fma_f64 v[60:61], v[36:37], s[34:35], v[60:61]
	;; [unrolled: 1-line block ×3, first 2 shown]
	v_fma_f64 v[62:63], v[52:53], s[18:19], -v[62:63]
	v_add_f64 v[60:61], v[60:61], v[70:71]
	v_mul_f64 v[70:71], v[54:55], s[18:19]
	v_add_f64 v[66:67], v[66:67], v[72:73]
	v_add_f64 v[68:69], v[68:69], v[76:77]
	;; [unrolled: 1-line block ×3, first 2 shown]
	v_mul_f64 v[74:75], v[38:39], s[24:25]
	v_fma_f64 v[72:73], v[36:37], s[20:21], v[70:71]
	v_fma_f64 v[70:71], v[36:37], s[38:39], v[70:71]
	;; [unrolled: 1-line block ×3, first 2 shown]
	v_fma_f64 v[74:75], v[52:53], s[0:1], -v[74:75]
	v_add_f64 v[70:71], v[70:71], v[78:79]
	v_mul_f64 v[78:79], v[54:55], s[0:1]
	v_add_f64 v[72:73], v[72:73], v[83:84]
	v_add_f64 v[76:77], v[76:77], v[87:88]
	;; [unrolled: 1-line block ×3, first 2 shown]
	v_mul_f64 v[85:86], v[38:39], s[12:13]
	v_fma_f64 v[83:84], v[36:37], s[2:3], v[78:79]
	v_fma_f64 v[78:79], v[36:37], s[24:25], v[78:79]
	v_mul_f64 v[38:39], v[38:39], s[26:27]
	v_fma_f64 v[87:88], v[52:53], s[4:5], v[85:86]
	v_fma_f64 v[85:86], v[52:53], s[4:5], -v[85:86]
	v_add_f64 v[78:79], v[78:79], v[89:90]
	v_mul_f64 v[89:90], v[54:55], s[4:5]
	v_mul_f64 v[54:55], v[54:55], s[22:23]
	v_add_f64 v[83:84], v[83:84], v[91:92]
	v_add_f64 v[87:88], v[87:88], v[95:96]
	;; [unrolled: 1-line block ×3, first 2 shown]
	v_fma_f64 v[93:94], v[52:53], s[22:23], v[38:39]
	v_fma_f64 v[38:39], v[52:53], s[22:23], -v[38:39]
	v_fma_f64 v[91:92], v[36:37], s[36:37], v[89:90]
	v_fma_f64 v[89:90], v[36:37], s[12:13], v[89:90]
	;; [unrolled: 1-line block ×4, first 2 shown]
	v_add_f64 v[93:94], v[93:94], v[101:102]
	v_add_f64 v[38:39], v[38:39], v[46:47]
	;; [unrolled: 1-line block ×3, first 2 shown]
	v_add_f64 v[30:31], v[30:31], -v[34:35]
	v_add_f64 v[91:92], v[91:92], v[99:100]
	v_add_f64 v[36:37], v[36:37], v[44:45]
	;; [unrolled: 1-line block ×3, first 2 shown]
	v_add_f64 v[28:29], v[28:29], -v[32:33]
	v_add_f64 v[95:96], v[95:96], v[103:104]
	v_add_f64 v[89:90], v[89:90], v[97:98]
	v_mul_f64 v[54:55], v[46:47], s[22:23]
	v_mul_f64 v[32:33], v[30:31], s[20:21]
	v_fma_f64 v[34:35], v[44:45], s[18:19], v[32:33]
	v_fma_f64 v[32:33], v[44:45], s[18:19], -v[32:33]
	v_add_f64 v[34:35], v[34:35], v[42:43]
	v_mul_f64 v[42:43], v[46:47], s[18:19]
	v_add_f64 v[32:33], v[32:33], v[40:41]
	v_fma_f64 v[52:53], v[28:29], s[38:39], v[42:43]
	v_fma_f64 v[40:41], v[28:29], s[20:21], v[42:43]
	v_mul_f64 v[42:43], v[30:31], s[40:41]
	v_add_f64 v[52:53], v[52:53], v[56:57]
	v_add_f64 v[40:41], v[40:41], v[48:49]
	v_fma_f64 v[48:49], v[44:45], s[22:23], v[42:43]
	v_fma_f64 v[42:43], v[44:45], s[22:23], -v[42:43]
	v_fma_f64 v[56:57], v[28:29], s[26:27], v[54:55]
	v_add_f64 v[48:49], v[48:49], v[58:59]
	v_add_f64 v[42:43], v[42:43], v[50:51]
	v_fma_f64 v[50:51], v[28:29], s[40:41], v[54:55]
	v_mul_f64 v[54:55], v[30:31], s[24:25]
	v_add_f64 v[56:57], v[56:57], v[66:67]
	v_add_f64 v[50:51], v[50:51], v[60:61]
	v_fma_f64 v[58:59], v[44:45], s[0:1], v[54:55]
	v_fma_f64 v[54:55], v[44:45], s[0:1], -v[54:55]
	v_mul_f64 v[60:61], v[46:47], s[0:1]
	v_add_f64 v[58:59], v[58:59], v[68:69]
	v_add_f64 v[54:55], v[54:55], v[62:63]
	v_mul_f64 v[62:63], v[30:31], s[16:17]
	v_fma_f64 v[66:67], v[28:29], s[2:3], v[60:61]
	v_fma_f64 v[60:61], v[28:29], s[24:25], v[60:61]
	;; [unrolled: 1-line block ×3, first 2 shown]
	v_fma_f64 v[62:63], v[44:45], s[14:15], -v[62:63]
	v_add_f64 v[60:61], v[60:61], v[70:71]
	v_mul_f64 v[70:71], v[46:47], s[14:15]
	v_add_f64 v[66:67], v[66:67], v[72:73]
	v_add_f64 v[68:69], v[68:69], v[76:77]
	;; [unrolled: 1-line block ×3, first 2 shown]
	v_mul_f64 v[74:75], v[30:31], s[42:43]
	v_fma_f64 v[72:73], v[28:29], s[28:29], v[70:71]
	v_fma_f64 v[70:71], v[28:29], s[16:17], v[70:71]
	v_mul_f64 v[30:31], v[30:31], s[36:37]
	v_fma_f64 v[76:77], v[44:45], s[30:31], v[74:75]
	v_fma_f64 v[74:75], v[44:45], s[30:31], -v[74:75]
	v_add_f64 v[70:71], v[70:71], v[78:79]
	v_mul_f64 v[78:79], v[46:47], s[30:31]
	v_mul_f64 v[46:47], v[46:47], s[4:5]
	v_add_f64 v[72:73], v[72:73], v[83:84]
	v_add_f64 v[76:77], v[76:77], v[87:88]
	v_add_f64 v[74:75], v[74:75], v[85:86]
	v_fma_f64 v[85:86], v[44:45], s[4:5], v[30:31]
	v_fma_f64 v[30:31], v[44:45], s[4:5], -v[30:31]
	v_fma_f64 v[83:84], v[28:29], s[34:35], v[78:79]
	v_fma_f64 v[78:79], v[28:29], s[42:43], v[78:79]
	;; [unrolled: 1-line block ×4, first 2 shown]
	v_add_f64 v[85:86], v[85:86], v[93:94]
	v_add_f64 v[30:31], v[30:31], v[38:39]
	;; [unrolled: 1-line block ×3, first 2 shown]
	v_add_f64 v[22:23], v[22:23], -v[26:27]
	v_add_f64 v[83:84], v[83:84], v[91:92]
	v_add_f64 v[28:29], v[28:29], v[36:37]
	;; [unrolled: 1-line block ×3, first 2 shown]
	v_add_f64 v[20:21], v[20:21], -v[24:25]
	v_add_f64 v[91:92], v[10:11], -v[14:15]
	v_add_f64 v[87:88], v[87:88], v[95:96]
	v_mul_f64 v[46:47], v[38:39], s[14:15]
	v_mul_f64 v[24:25], v[22:23], s[26:27]
	v_add_f64 v[78:79], v[78:79], v[89:90]
	v_add_f64 v[89:90], v[8:9], -v[12:13]
	v_fma_f64 v[26:27], v[36:37], s[22:23], v[24:25]
	v_fma_f64 v[24:25], v[36:37], s[22:23], -v[24:25]
	v_add_f64 v[26:27], v[26:27], v[34:35]
	v_mul_f64 v[34:35], v[38:39], s[22:23]
	v_add_f64 v[24:25], v[24:25], v[32:33]
	v_fma_f64 v[44:45], v[20:21], s[40:41], v[34:35]
	v_fma_f64 v[32:33], v[20:21], s[26:27], v[34:35]
	v_mul_f64 v[34:35], v[22:23], s[28:29]
	v_add_f64 v[44:45], v[44:45], v[52:53]
	v_add_f64 v[32:33], v[32:33], v[40:41]
	v_fma_f64 v[40:41], v[36:37], s[14:15], v[34:35]
	v_fma_f64 v[34:35], v[36:37], s[14:15], -v[34:35]
	v_mul_f64 v[52:53], v[38:39], s[4:5]
	v_add_f64 v[40:41], v[40:41], v[48:49]
	v_fma_f64 v[48:49], v[20:21], s[16:17], v[46:47]
	v_add_f64 v[34:35], v[34:35], v[42:43]
	v_fma_f64 v[42:43], v[20:21], s[28:29], v[46:47]
	v_mul_f64 v[46:47], v[22:23], s[12:13]
	v_add_f64 v[48:49], v[48:49], v[56:57]
	v_fma_f64 v[56:57], v[20:21], s[36:37], v[52:53]
	v_add_f64 v[42:43], v[42:43], v[50:51]
	v_fma_f64 v[50:51], v[36:37], s[4:5], v[46:47]
	v_fma_f64 v[46:47], v[36:37], s[4:5], -v[46:47]
	v_fma_f64 v[52:53], v[20:21], s[12:13], v[52:53]
	v_add_f64 v[56:57], v[56:57], v[66:67]
	v_add_f64 v[50:51], v[50:51], v[58:59]
	;; [unrolled: 1-line block ×3, first 2 shown]
	v_mul_f64 v[54:55], v[22:23], s[42:43]
	v_add_f64 v[52:53], v[52:53], v[60:61]
	v_mul_f64 v[60:61], v[38:39], s[30:31]
	v_fma_f64 v[58:59], v[36:37], s[30:31], v[54:55]
	v_fma_f64 v[54:55], v[36:37], s[30:31], -v[54:55]
	v_fma_f64 v[66:67], v[20:21], s[34:35], v[60:61]
	v_fma_f64 v[60:61], v[20:21], s[42:43], v[60:61]
	v_add_f64 v[58:59], v[58:59], v[68:69]
	v_add_f64 v[54:55], v[54:55], v[62:63]
	v_mul_f64 v[62:63], v[22:23], s[24:25]
	v_mul_f64 v[22:23], v[22:23], s[20:21]
	v_add_f64 v[60:61], v[60:61], v[70:71]
	v_mul_f64 v[70:71], v[38:39], s[0:1]
	v_mul_f64 v[38:39], v[38:39], s[18:19]
	v_add_f64 v[66:67], v[66:67], v[72:73]
	v_fma_f64 v[68:69], v[36:37], s[0:1], v[62:63]
	v_fma_f64 v[62:63], v[36:37], s[0:1], -v[62:63]
	v_fma_f64 v[72:73], v[20:21], s[2:3], v[70:71]
	v_fma_f64 v[70:71], v[20:21], s[24:25], v[70:71]
	v_add_f64 v[68:69], v[68:69], v[76:77]
	v_add_f64 v[62:63], v[62:63], v[74:75]
	v_fma_f64 v[74:75], v[36:37], s[18:19], v[22:23]
	v_fma_f64 v[76:77], v[20:21], s[38:39], v[38:39]
	;; [unrolled: 1-line block ×3, first 2 shown]
	v_add_f64 v[72:73], v[72:73], v[83:84]
	v_fma_f64 v[22:23], v[36:37], s[18:19], -v[22:23]
	v_add_f64 v[70:71], v[70:71], v[78:79]
	v_add_f64 v[74:75], v[74:75], v[85:86]
	;; [unrolled: 1-line block ×3, first 2 shown]
	v_mul_f64 v[12:13], v[91:92], s[34:35]
	v_add_f64 v[76:77], v[76:77], v[87:88]
	v_add_f64 v[87:88], v[10:11], v[14:15]
	v_add_f64 v[83:84], v[20:21], v[28:29]
	v_add_f64 v[78:79], v[22:23], v[30:31]
	v_fma_f64 v[8:9], v[85:86], s[30:31], v[12:13]
	v_fma_f64 v[12:13], v[85:86], s[30:31], -v[12:13]
	v_mul_f64 v[14:15], v[87:88], s[30:31]
	v_add_f64 v[8:9], v[8:9], v[26:27]
	v_add_f64 v[12:13], v[12:13], v[24:25]
	v_mul_f64 v[24:25], v[91:92], s[24:25]
	v_fma_f64 v[10:11], v[89:90], s[42:43], v[14:15]
	v_fma_f64 v[14:15], v[89:90], s[34:35], v[14:15]
	v_mul_f64 v[26:27], v[87:88], s[0:1]
	v_fma_f64 v[20:21], v[85:86], s[0:1], v[24:25]
	v_fma_f64 v[24:25], v[85:86], s[0:1], -v[24:25]
	v_add_f64 v[14:15], v[14:15], v[32:33]
	v_mul_f64 v[32:33], v[91:92], s[26:27]
	v_fma_f64 v[22:23], v[89:90], s[2:3], v[26:27]
	v_fma_f64 v[26:27], v[89:90], s[24:25], v[26:27]
	v_add_f64 v[10:11], v[10:11], v[44:45]
	v_add_f64 v[20:21], v[20:21], v[40:41]
	;; [unrolled: 1-line block ×3, first 2 shown]
	v_mul_f64 v[34:35], v[87:88], s[22:23]
	v_mul_f64 v[40:41], v[91:92], s[36:37]
	v_fma_f64 v[28:29], v[85:86], s[22:23], v[32:33]
	v_add_f64 v[26:27], v[26:27], v[42:43]
	v_mul_f64 v[42:43], v[87:88], s[4:5]
	v_add_f64 v[22:23], v[22:23], v[48:49]
	v_fma_f64 v[32:33], v[85:86], s[22:23], -v[32:33]
	v_mul_f64 v[48:49], v[91:92], s[20:21]
	v_fma_f64 v[30:31], v[89:90], s[40:41], v[34:35]
	v_fma_f64 v[36:37], v[85:86], s[4:5], v[40:41]
	v_add_f64 v[28:29], v[28:29], v[50:51]
	v_mul_f64 v[50:51], v[87:88], s[18:19]
	v_fma_f64 v[34:35], v[89:90], s[26:27], v[34:35]
	v_fma_f64 v[40:41], v[85:86], s[4:5], -v[40:41]
	v_fma_f64 v[38:39], v[89:90], s[12:13], v[42:43]
	v_add_f64 v[32:33], v[32:33], v[46:47]
	v_add_f64 v[30:31], v[30:31], v[56:57]
	;; [unrolled: 1-line block ×3, first 2 shown]
	v_mul_f64 v[56:57], v[91:92], s[28:29]
	v_mul_f64 v[58:59], v[87:88], s[14:15]
	v_fma_f64 v[44:45], v[85:86], s[18:19], v[48:49]
	v_fma_f64 v[46:47], v[89:90], s[38:39], v[50:51]
	v_add_f64 v[34:35], v[34:35], v[52:53]
	v_add_f64 v[40:41], v[40:41], v[54:55]
	v_fma_f64 v[42:43], v[89:90], s[36:37], v[42:43]
	v_fma_f64 v[48:49], v[85:86], s[18:19], -v[48:49]
	v_fma_f64 v[52:53], v[85:86], s[14:15], v[56:57]
	v_fma_f64 v[54:55], v[89:90], s[16:17], v[58:59]
	v_fma_f64 v[56:57], v[85:86], s[14:15], -v[56:57]
	v_fma_f64 v[58:59], v[89:90], s[28:29], v[58:59]
	v_fma_f64 v[50:51], v[89:90], s[20:21], v[50:51]
	v_add_f64 v[38:39], v[38:39], v[66:67]
	v_add_f64 v[44:45], v[44:45], v[68:69]
	;; [unrolled: 1-line block ×10, first 2 shown]
	ds_write_b128 v82, v[16:19]
	ds_write_b128 v82, v[8:11] offset:16
	ds_write_b128 v82, v[20:23] offset:32
	;; [unrolled: 1-line block ×12, first 2 shown]
	s_and_saveexec_b64 s[44:45], vcc
	s_cbranch_execz .LBB0_13
; %bb.12:
	buffer_store_dword v133, off, s[52:55], 0 offset:540 ; 4-byte Folded Spill
	buffer_store_dword v134, off, s[52:55], 0 offset:544 ; 4-byte Folded Spill
	buffer_store_dword v135, off, s[52:55], 0 offset:548 ; 4-byte Folded Spill
	buffer_store_dword v229, off, s[52:55], 0 offset:568 ; 4-byte Folded Spill
	s_nop 0
	buffer_store_dword v230, off, s[52:55], 0 offset:572 ; 4-byte Folded Spill
	buffer_store_dword v231, off, s[52:55], 0 offset:576 ; 4-byte Folded Spill
	;; [unrolled: 1-line block ×4, first 2 shown]
	buffer_load_dword v133, off, s[52:55], 0 offset:16 ; 4-byte Folded Reload
	s_nop 0
	buffer_load_dword v134, off, s[52:55], 0 offset:20 ; 4-byte Folded Reload
	buffer_load_dword v135, off, s[52:55], 0 offset:24 ; 4-byte Folded Reload
	buffer_load_dword v136, off, s[52:55], 0 offset:28 ; 4-byte Folded Reload
	s_nop 0
	buffer_store_dword v164, off, s[52:55], 0 offset:688 ; 4-byte Folded Spill
	s_nop 0
	buffer_store_dword v165, off, s[52:55], 0 offset:692 ; 4-byte Folded Spill
	buffer_store_dword v166, off, s[52:55], 0 offset:696 ; 4-byte Folded Spill
	buffer_store_dword v167, off, s[52:55], 0 offset:700 ; 4-byte Folded Spill
	buffer_store_dword v168, off, s[52:55], 0 offset:712 ; 4-byte Folded Spill
	s_nop 0
	buffer_store_dword v169, off, s[52:55], 0 offset:716 ; 4-byte Folded Spill
	buffer_store_dword v170, off, s[52:55], 0 offset:720 ; 4-byte Folded Spill
	buffer_store_dword v171, off, s[52:55], 0 offset:724 ; 4-byte Folded Spill
	buffer_load_dword v165, off, s[52:55], 0 offset:144 ; 4-byte Folded Reload
	s_nop 0
	buffer_load_dword v166, off, s[52:55], 0 offset:148 ; 4-byte Folded Reload
	buffer_load_dword v167, off, s[52:55], 0 offset:152 ; 4-byte Folded Reload
	buffer_load_dword v168, off, s[52:55], 0 offset:156 ; 4-byte Folded Reload
	s_nop 0
	buffer_store_dword v233, off, s[52:55], 0 offset:672 ; 4-byte Folded Spill
	s_nop 0
	buffer_store_dword v234, off, s[52:55], 0 offset:676 ; 4-byte Folded Spill
	buffer_store_dword v235, off, s[52:55], 0 offset:680 ; 4-byte Folded Spill
	buffer_store_dword v236, off, s[52:55], 0 offset:684 ; 4-byte Folded Spill
	buffer_store_dword v172, off, s[52:55], 0 offset:744 ; 4-byte Folded Spill
	s_nop 0
	buffer_store_dword v173, off, s[52:55], 0 offset:748 ; 4-byte Folded Spill
	buffer_store_dword v174, off, s[52:55], 0 offset:752 ; 4-byte Folded Spill
	buffer_store_dword v175, off, s[52:55], 0 offset:756 ; 4-byte Folded Spill
	;; [unrolled: 16-line block ×3, first 2 shown]
	buffer_store_dword v152, off, s[52:55], 0 offset:592 ; 4-byte Folded Spill
	s_nop 0
	buffer_store_dword v153, off, s[52:55], 0 offset:596 ; 4-byte Folded Spill
	buffer_store_dword v154, off, s[52:55], 0 offset:600 ; 4-byte Folded Spill
	;; [unrolled: 1-line block ×3, first 2 shown]
	v_mov_b32_e32 v255, v159
	v_mov_b32_e32 v251, v163
	;; [unrolled: 1-line block ×5, first 2 shown]
	buffer_load_dword v153, off, s[52:55], 0 offset:96 ; 4-byte Folded Reload
	buffer_load_dword v154, off, s[52:55], 0 offset:100 ; 4-byte Folded Reload
	;; [unrolled: 1-line block ×4, first 2 shown]
	v_mov_b32_e32 v250, v162
	v_mov_b32_e32 v249, v161
	;; [unrolled: 1-line block ×3, first 2 shown]
	buffer_load_dword v161, off, s[52:55], 0 offset:128 ; 4-byte Folded Reload
	buffer_load_dword v162, off, s[52:55], 0 offset:132 ; 4-byte Folded Reload
	;; [unrolled: 1-line block ×4, first 2 shown]
	s_nop 0
	buffer_store_dword v121, off, s[52:55], 0 offset:608 ; 4-byte Folded Spill
	s_nop 0
	buffer_store_dword v122, off, s[52:55], 0 offset:612 ; 4-byte Folded Spill
	buffer_store_dword v123, off, s[52:55], 0 offset:616 ; 4-byte Folded Spill
	buffer_store_dword v124, off, s[52:55], 0 offset:620 ; 4-byte Folded Spill
	buffer_store_dword v142, off, s[52:55], 0 offset:552 ; 4-byte Folded Spill
	s_nop 0
	buffer_store_dword v143, off, s[52:55], 0 offset:556 ; 4-byte Folded Spill
	buffer_store_dword v144, off, s[52:55], 0 offset:560 ; 4-byte Folded Spill
	buffer_store_dword v145, off, s[52:55], 0 offset:564 ; 4-byte Folded Spill
	;; [unrolled: 5-line block ×3, first 2 shown]
	v_mov_b32_e32 v232, v132
	buffer_load_dword v145, off, s[52:55], 0 offset:64 ; 4-byte Folded Reload
	buffer_load_dword v146, off, s[52:55], 0 offset:68 ; 4-byte Folded Reload
	;; [unrolled: 1-line block ×8, first 2 shown]
	v_mov_b32_e32 v231, v131
	v_mov_b32_e32 v230, v130
	;; [unrolled: 1-line block ×3, first 2 shown]
	buffer_load_dword v129, off, s[52:55], 0 ; 4-byte Folded Reload
	buffer_load_dword v130, off, s[52:55], 0 offset:4 ; 4-byte Folded Reload
	buffer_load_dword v131, off, s[52:55], 0 offset:8 ; 4-byte Folded Reload
	;; [unrolled: 1-line block ×3, first 2 shown]
	s_nop 0
	buffer_store_dword v138, off, s[52:55], 0 offset:624 ; 4-byte Folded Spill
	s_nop 0
	buffer_store_dword v139, off, s[52:55], 0 offset:628 ; 4-byte Folded Spill
	buffer_store_dword v140, off, s[52:55], 0 offset:632 ; 4-byte Folded Spill
	;; [unrolled: 1-line block ×3, first 2 shown]
	buffer_load_dword v141, off, s[52:55], 0 offset:48 ; 4-byte Folded Reload
	s_nop 0
	buffer_load_dword v142, off, s[52:55], 0 offset:52 ; 4-byte Folded Reload
	buffer_load_dword v143, off, s[52:55], 0 offset:56 ; 4-byte Folded Reload
	;; [unrolled: 1-line block ×3, first 2 shown]
	v_mov_b32_e32 v173, v137
	buffer_load_dword v137, off, s[52:55], 0 offset:32 ; 4-byte Folded Reload
	buffer_load_dword v138, off, s[52:55], 0 offset:36 ; 4-byte Folded Reload
	;; [unrolled: 1-line block ×4, first 2 shown]
	s_nop 0
	buffer_store_dword v150, off, s[52:55], 0 offset:588 ; 4-byte Folded Spill
	buffer_store_dword v125, off, s[52:55], 0 offset:760 ; 4-byte Folded Spill
	s_nop 0
	buffer_store_dword v126, off, s[52:55], 0 offset:764 ; 4-byte Folded Spill
	buffer_store_dword v127, off, s[52:55], 0 offset:768 ; 4-byte Folded Spill
	;; [unrolled: 1-line block ×3, first 2 shown]
	v_mov_b32_e32 v125, v225
	v_mov_b32_e32 v126, v226
	;; [unrolled: 1-line block ×5, first 2 shown]
	buffer_load_dword v149, off, s[52:55], 0 offset:80 ; 4-byte Folded Reload
	buffer_load_dword v150, off, s[52:55], 0 offset:84 ; 4-byte Folded Reload
	;; [unrolled: 1-line block ×4, first 2 shown]
	v_mov_b32_e32 v233, v81
	buffer_store_dword v208, off, s[52:55], 0 offset:704 ; 4-byte Folded Spill
	buffer_store_dword v209, off, s[52:55], 0 offset:708 ; 4-byte Folded Spill
	v_mov_b32_e32 v209, v207
	v_mov_b32_e32 v208, v206
	;; [unrolled: 1-line block ×20, first 2 shown]
	s_waitcnt vmcnt(62)
	v_add_f64 v[68:69], v[4:5], -v[133:134]
	v_add_f64 v[30:31], v[6:7], v[135:136]
	v_add_f64 v[52:53], v[6:7], -v[135:136]
	v_add_f64 v[48:49], v[4:5], v[133:134]
	v_add_f64 v[6:7], v[2:3], v[6:7]
	v_add_f64 v[32:33], v[165:166], -v[169:170]
	v_add_f64 v[20:21], v[167:168], v[171:172]
	v_add_f64 v[38:39], v[167:168], -v[171:172]
	v_mul_f64 v[8:9], v[68:69], s[34:35]
	v_add_f64 v[4:5], v[0:1], v[4:5]
	v_mul_f64 v[16:17], v[52:53], s[34:35]
	v_mul_f64 v[81:82], v[32:33], s[28:29]
	s_waitcnt vmcnt(49)
	v_add_f64 v[36:37], v[153:154], -v[161:162]
	v_fma_f64 v[12:13], v[30:31], s[30:31], v[8:9]
	v_fma_f64 v[62:63], v[48:49], s[30:31], -v[16:17]
	s_waitcnt vmcnt(29)
	v_add_f64 v[40:41], v[145:146], -v[157:158]
	v_fma_f64 v[8:9], v[30:31], s[30:31], -v[8:9]
	s_waitcnt vmcnt(27)
	v_add_f64 v[24:25], v[147:148], v[159:160]
	v_add_f64 v[60:61], v[147:148], -v[159:160]
	v_add_f64 v[22:23], v[155:156], v[163:164]
	v_add_f64 v[54:55], v[155:156], -v[163:164]
	s_waitcnt vmcnt(17)
	v_add_f64 v[66:67], v[129:130], -v[141:142]
	s_waitcnt vmcnt(15)
	v_add_f64 v[28:29], v[131:132], v[143:144]
	v_add_f64 v[50:51], v[131:132], -v[143:144]
	v_add_f64 v[12:13], v[2:3], v[12:13]
	v_add_f64 v[46:47], v[129:130], v[141:142]
	v_mul_f64 v[70:71], v[40:41], s[36:37]
	v_add_f64 v[62:63], v[0:1], v[62:63]
	v_add_f64 v[8:9], v[2:3], v[8:9]
	v_mul_f64 v[10:11], v[66:67], s[24:25]
	s_waitcnt vmcnt(4)
	v_add_f64 v[44:45], v[137:138], -v[149:150]
	s_waitcnt vmcnt(2)
	v_add_f64 v[26:27], v[139:140], v[151:152]
	v_add_f64 v[56:57], v[139:140], -v[151:152]
	v_mul_f64 v[72:73], v[50:51], s[24:25]
	v_add_f64 v[42:43], v[137:138], v[149:150]
	v_add_f64 v[34:35], v[145:146], v[157:158]
	v_fma_f64 v[76:77], v[24:25], s[4:5], v[70:71]
	v_fma_f64 v[18:19], v[28:29], s[0:1], v[10:11]
	v_mul_f64 v[14:15], v[44:45], s[26:27]
	v_fma_f64 v[10:11], v[28:29], s[0:1], -v[10:11]
	v_mul_f64 v[74:75], v[56:57], s[26:27]
	v_fma_f64 v[78:79], v[46:47], s[0:1], -v[72:73]
	v_mul_f64 v[83:84], v[60:61], s[36:37]
	v_fma_f64 v[16:17], v[48:49], s[30:31], v[16:17]
	v_fma_f64 v[70:71], v[24:25], s[4:5], -v[70:71]
	v_add_f64 v[12:13], v[18:19], v[12:13]
	v_fma_f64 v[58:59], v[26:27], s[22:23], v[14:15]
	v_mul_f64 v[18:19], v[36:37], s[20:21]
	v_fma_f64 v[87:88], v[42:43], s[22:23], -v[74:75]
	v_add_f64 v[62:63], v[78:79], v[62:63]
	v_fma_f64 v[14:15], v[26:27], s[22:23], -v[14:15]
	v_add_f64 v[8:9], v[10:11], v[8:9]
	v_fma_f64 v[10:11], v[34:35], s[4:5], -v[83:84]
	v_fma_f64 v[72:73], v[46:47], s[0:1], v[72:73]
	v_add_f64 v[12:13], v[58:59], v[12:13]
	v_fma_f64 v[85:86], v[22:23], s[18:19], v[18:19]
	v_add_f64 v[58:59], v[153:154], v[161:162]
	v_add_f64 v[78:79], v[87:88], v[62:63]
	;; [unrolled: 1-line block ×5, first 2 shown]
	v_mul_f64 v[87:88], v[38:39], s[28:29]
	v_add_f64 v[12:13], v[76:77], v[12:13]
	v_mul_f64 v[76:77], v[54:55], s[20:21]
	v_fma_f64 v[18:19], v[22:23], s[18:19], -v[18:19]
	v_add_f64 v[10:11], v[10:11], v[78:79]
	v_fma_f64 v[78:79], v[20:21], s[14:15], v[81:82]
	v_fma_f64 v[74:75], v[42:43], s[22:23], v[74:75]
	v_add_f64 v[16:17], v[72:73], v[16:17]
	v_add_f64 v[8:9], v[70:71], v[8:9]
	;; [unrolled: 1-line block ×3, first 2 shown]
	v_fma_f64 v[14:15], v[58:59], s[18:19], -v[76:77]
	v_fma_f64 v[70:71], v[62:63], s[14:15], -v[87:88]
	;; [unrolled: 1-line block ×3, first 2 shown]
	v_fma_f64 v[81:82], v[34:35], s[4:5], v[83:84]
	v_mul_f64 v[83:84], v[68:69], s[26:27]
	v_add_f64 v[16:17], v[74:75], v[16:17]
	v_add_f64 v[18:19], v[18:19], v[8:9]
	;; [unrolled: 1-line block ×4, first 2 shown]
	v_mul_f64 v[12:13], v[52:53], s[26:27]
	v_mul_f64 v[74:75], v[66:67], s[28:29]
	v_fma_f64 v[78:79], v[62:63], s[14:15], v[87:88]
	v_mul_f64 v[89:90], v[40:41], s[42:43]
	v_add_f64 v[16:17], v[81:82], v[16:17]
	v_add_f64 v[200:201], v[72:73], v[18:19]
	v_mul_f64 v[18:19], v[50:51], s[28:29]
	v_add_f64 v[222:223], v[70:71], v[14:15]
	v_fma_f64 v[70:71], v[58:59], s[18:19], v[76:77]
	v_fma_f64 v[76:77], v[30:31], s[22:23], v[83:84]
	v_fma_f64 v[72:73], v[48:49], s[22:23], -v[12:13]
	v_mul_f64 v[81:82], v[44:45], s[12:13]
	v_fma_f64 v[85:86], v[28:29], s[14:15], v[74:75]
	v_fma_f64 v[83:84], v[30:31], s[22:23], -v[83:84]
	v_fma_f64 v[87:88], v[46:47], s[14:15], -v[18:19]
	v_mul_f64 v[93:94], v[60:61], s[42:43]
	v_add_f64 v[16:17], v[70:71], v[16:17]
	v_add_f64 v[76:77], v[2:3], v[76:77]
	v_mul_f64 v[70:71], v[56:57], s[12:13]
	v_add_f64 v[72:73], v[0:1], v[72:73]
	v_fma_f64 v[91:92], v[26:27], s[4:5], v[81:82]
	v_fma_f64 v[74:75], v[28:29], s[14:15], -v[74:75]
	v_add_f64 v[83:84], v[2:3], v[83:84]
	v_mul_f64 v[97:98], v[54:55], s[24:25]
	v_fma_f64 v[99:100], v[34:35], s[30:31], -v[93:94]
	v_add_f64 v[76:77], v[85:86], v[76:77]
	v_fma_f64 v[95:96], v[42:43], s[4:5], -v[70:71]
	v_add_f64 v[72:73], v[87:88], v[72:73]
	v_mul_f64 v[85:86], v[36:37], s[24:25]
	v_fma_f64 v[87:88], v[24:25], s[30:31], v[89:90]
	v_fma_f64 v[81:82], v[26:27], s[4:5], -v[81:82]
	v_add_f64 v[74:75], v[74:75], v[83:84]
	v_mul_f64 v[83:84], v[38:39], s[20:21]
	v_add_f64 v[76:77], v[91:92], v[76:77]
	v_mul_f64 v[91:92], v[32:33], s[20:21]
	v_add_f64 v[72:73], v[95:96], v[72:73]
	v_fma_f64 v[95:96], v[22:23], s[0:1], v[85:86]
	v_fma_f64 v[12:13], v[48:49], s[22:23], v[12:13]
	v_fma_f64 v[89:90], v[24:25], s[30:31], -v[89:90]
	v_add_f64 v[74:75], v[81:82], v[74:75]
	v_fma_f64 v[81:82], v[62:63], s[18:19], -v[83:84]
	v_add_f64 v[76:77], v[87:88], v[76:77]
	;; [unrolled: 2-line block ×3, first 2 shown]
	v_fma_f64 v[99:100], v[20:21], s[18:19], v[91:92]
	v_add_f64 v[101:102], v[0:1], v[12:13]
	v_mov_b32_e32 v12, v196
	v_mov_b32_e32 v13, v197
	;; [unrolled: 1-line block ×3, first 2 shown]
	v_add_f64 v[76:77], v[95:96], v[76:77]
	v_fma_f64 v[95:96], v[46:47], s[14:15], v[18:19]
	v_add_f64 v[72:73], v[87:88], v[72:73]
	v_mov_b32_e32 v15, v199
	v_add_f64 v[198:199], v[78:79], v[16:17]
	v_fma_f64 v[78:79], v[22:23], s[0:1], -v[85:86]
	v_add_f64 v[74:75], v[89:90], v[74:75]
	v_fma_f64 v[70:71], v[42:43], s[4:5], v[70:71]
	v_add_f64 v[18:19], v[99:100], v[76:77]
	v_mul_f64 v[76:77], v[68:69], s[20:21]
	v_add_f64 v[85:86], v[95:96], v[101:102]
	v_add_f64 v[16:17], v[81:82], v[72:73]
	v_mul_f64 v[81:82], v[52:53], s[20:21]
	v_fma_f64 v[72:73], v[20:21], s[18:19], -v[91:92]
	v_add_f64 v[74:75], v[78:79], v[74:75]
	v_fma_f64 v[78:79], v[34:35], s[30:31], v[93:94]
	v_mul_f64 v[87:88], v[66:67], s[40:41]
	v_fma_f64 v[89:90], v[30:31], s[18:19], v[76:77]
	v_add_f64 v[70:71], v[70:71], v[85:86]
	v_mul_f64 v[85:86], v[50:51], s[40:41]
	v_fma_f64 v[91:92], v[48:49], s[18:19], -v[81:82]
	v_fma_f64 v[93:94], v[58:59], s[0:1], v[97:98]
	v_mul_f64 v[95:96], v[44:45], s[24:25]
	v_fma_f64 v[76:77], v[30:31], s[18:19], -v[76:77]
	v_fma_f64 v[97:98], v[28:29], s[22:23], v[87:88]
	v_add_f64 v[89:90], v[2:3], v[89:90]
	v_add_f64 v[70:71], v[78:79], v[70:71]
	v_mul_f64 v[78:79], v[56:57], s[24:25]
	v_fma_f64 v[99:100], v[46:47], s[22:23], -v[85:86]
	v_add_f64 v[91:92], v[0:1], v[91:92]
	v_mul_f64 v[101:102], v[40:41], s[16:17]
	v_fma_f64 v[103:104], v[26:27], s[0:1], v[95:96]
	v_mul_f64 v[105:106], v[60:61], s[16:17]
	v_add_f64 v[89:90], v[97:98], v[89:90]
	v_fma_f64 v[87:88], v[28:29], s[22:23], -v[87:88]
	v_fma_f64 v[107:108], v[42:43], s[0:1], -v[78:79]
	v_add_f64 v[76:77], v[2:3], v[76:77]
	v_add_f64 v[91:92], v[99:100], v[91:92]
	v_mul_f64 v[97:98], v[36:37], s[42:43]
	v_fma_f64 v[99:100], v[24:25], s[14:15], v[101:102]
	v_mul_f64 v[109:110], v[54:55], s[42:43]
	v_add_f64 v[89:90], v[103:104], v[89:90]
	v_fma_f64 v[111:112], v[34:35], s[14:15], -v[105:106]
	v_fma_f64 v[95:96], v[26:27], s[0:1], -v[95:96]
	v_add_f64 v[76:77], v[87:88], v[76:77]
	v_add_f64 v[91:92], v[107:108], v[91:92]
	v_fma_f64 v[83:84], v[62:63], s[18:19], v[83:84]
	v_mul_f64 v[103:104], v[32:33], s[36:37]
	v_fma_f64 v[87:88], v[22:23], s[30:31], v[97:98]
	v_add_f64 v[89:90], v[99:100], v[89:90]
	v_add_f64 v[70:71], v[93:94], v[70:71]
	v_mul_f64 v[93:94], v[38:39], s[36:37]
	v_fma_f64 v[99:100], v[58:59], s[30:31], -v[109:110]
	v_add_f64 v[91:92], v[111:112], v[91:92]
	v_fma_f64 v[101:102], v[24:25], s[14:15], -v[101:102]
	v_add_f64 v[76:77], v[95:96], v[76:77]
	v_fma_f64 v[95:96], v[20:21], s[4:5], v[103:104]
	v_add_f64 v[87:88], v[87:88], v[89:90]
	v_add_f64 v[72:73], v[72:73], v[74:75]
	v_fma_f64 v[74:75], v[62:63], s[4:5], -v[93:94]
	v_fma_f64 v[81:82], v[48:49], s[18:19], v[81:82]
	v_add_f64 v[89:90], v[99:100], v[91:92]
	v_fma_f64 v[91:92], v[22:23], s[30:31], -v[97:98]
	v_add_f64 v[97:98], v[101:102], v[76:77]
	v_add_f64 v[70:71], v[83:84], v[70:71]
	v_fma_f64 v[83:84], v[46:47], s[22:23], v[85:86]
	v_mul_f64 v[85:86], v[68:69], s[16:17]
	v_add_f64 v[76:77], v[95:96], v[87:88]
	v_add_f64 v[81:82], v[0:1], v[81:82]
	;; [unrolled: 1-line block ×3, first 2 shown]
	v_mul_f64 v[95:96], v[66:67], s[34:35]
	v_add_f64 v[89:90], v[91:92], v[97:98]
	v_mul_f64 v[91:92], v[52:53], s[16:17]
	v_fma_f64 v[87:88], v[20:21], s[4:5], -v[103:104]
	v_fma_f64 v[97:98], v[30:31], s[14:15], v[85:86]
	v_fma_f64 v[78:79], v[42:43], s[0:1], v[78:79]
	v_add_f64 v[81:82], v[83:84], v[81:82]
	v_fma_f64 v[83:84], v[34:35], s[14:15], v[105:106]
	v_mul_f64 v[99:100], v[44:45], s[38:39]
	v_mul_f64 v[101:102], v[50:51], s[34:35]
	v_fma_f64 v[103:104], v[48:49], s[14:15], -v[91:92]
	v_fma_f64 v[105:106], v[28:29], s[30:31], v[95:96]
	v_add_f64 v[97:98], v[2:3], v[97:98]
	v_mov_b32_e32 v8, v187
	v_mov_b32_e32 v9, v188
	;; [unrolled: 1-line block ×5, first 2 shown]
	v_add_f64 v[78:79], v[78:79], v[81:82]
	v_fma_f64 v[81:82], v[58:59], s[30:31], v[109:110]
	v_mul_f64 v[107:108], v[40:41], s[24:25]
	v_mul_f64 v[109:110], v[56:57], s[38:39]
	v_fma_f64 v[111:112], v[46:47], s[30:31], -v[101:102]
	v_add_f64 v[103:104], v[0:1], v[103:104]
	v_mov_b32_e32 v186, v115
	v_mov_b32_e32 v185, v114
	;; [unrolled: 1-line block ×3, first 2 shown]
	v_fma_f64 v[113:114], v[26:27], s[18:19], v[99:100]
	v_add_f64 v[97:98], v[105:106], v[97:98]
	v_add_f64 v[78:79], v[83:84], v[78:79]
	v_mul_f64 v[105:106], v[36:37], s[12:13]
	v_mul_f64 v[115:116], v[60:61], s[24:25]
	v_fma_f64 v[83:84], v[42:43], s[18:19], -v[109:110]
	v_fma_f64 v[85:86], v[30:31], s[14:15], -v[85:86]
	v_add_f64 v[103:104], v[111:112], v[103:104]
	v_fma_f64 v[111:112], v[24:25], s[0:1], v[107:108]
	v_add_f64 v[97:98], v[113:114], v[97:98]
	v_mov_b32_e32 v191, v120
	v_mul_f64 v[113:114], v[32:33], s[26:27]
	v_mov_b32_e32 v190, v119
	v_mov_b32_e32 v189, v118
	;; [unrolled: 1-line block ×3, first 2 shown]
	v_mul_f64 v[117:118], v[54:55], s[12:13]
	v_fma_f64 v[119:120], v[34:35], s[0:1], -v[115:116]
	v_fma_f64 v[95:96], v[28:29], s[30:31], -v[95:96]
	v_add_f64 v[85:86], v[2:3], v[85:86]
	v_add_f64 v[83:84], v[83:84], v[103:104]
	v_fma_f64 v[103:104], v[22:23], s[4:5], v[105:106]
	v_add_f64 v[97:98], v[111:112], v[97:98]
	v_fma_f64 v[93:94], v[62:63], s[4:5], v[93:94]
	v_add_f64 v[78:79], v[81:82], v[78:79]
	v_fma_f64 v[81:82], v[58:59], s[4:5], -v[117:118]
	v_fma_f64 v[99:100], v[26:27], s[18:19], -v[99:100]
	v_add_f64 v[85:86], v[95:96], v[85:86]
	v_add_f64 v[95:96], v[119:120], v[83:84]
	v_fma_f64 v[119:120], v[20:21], s[22:23], v[113:114]
	v_add_f64 v[97:98], v[103:104], v[97:98]
	v_fma_f64 v[91:92], v[48:49], s[14:15], v[91:92]
	v_mul_f64 v[111:112], v[38:39], s[26:27]
	v_add_f64 v[83:84], v[87:88], v[89:90]
	v_fma_f64 v[103:104], v[24:25], s[0:1], -v[107:108]
	v_add_f64 v[85:86], v[99:100], v[85:86]
	v_add_f64 v[95:96], v[81:82], v[95:96]
	v_add_f64 v[81:82], v[93:94], v[78:79]
	v_add_f64 v[87:88], v[119:120], v[97:98]
	v_mul_f64 v[93:94], v[68:69], s[12:13]
	v_fma_f64 v[97:98], v[46:47], s[30:31], v[101:102]
	v_add_f64 v[91:92], v[0:1], v[91:92]
	v_fma_f64 v[89:90], v[62:63], s[22:23], -v[111:112]
	v_fma_f64 v[78:79], v[22:23], s[4:5], -v[105:106]
	v_add_f64 v[99:100], v[103:104], v[85:86]
	v_mul_f64 v[101:102], v[66:67], s[20:21]
	v_fma_f64 v[105:106], v[42:43], s[18:19], v[109:110]
	v_fma_f64 v[103:104], v[30:31], s[4:5], v[93:94]
	v_mul_f64 v[107:108], v[44:45], s[34:35]
	v_add_f64 v[91:92], v[97:98], v[91:92]
	v_add_f64 v[85:86], v[89:90], v[95:96]
	v_fma_f64 v[89:90], v[20:21], s[22:23], -v[113:114]
	v_fma_f64 v[113:114], v[34:35], s[0:1], v[115:116]
	v_fma_f64 v[109:110], v[28:29], s[18:19], v[101:102]
	v_add_f64 v[78:79], v[78:79], v[99:100]
	v_add_f64 v[103:104], v[2:3], v[103:104]
	v_mul_f64 v[95:96], v[52:53], s[12:13]
	v_add_f64 v[91:92], v[105:106], v[91:92]
	v_mul_f64 v[97:98], v[50:51], s[20:21]
	v_mul_f64 v[119:120], v[40:41], s[40:41]
	v_fma_f64 v[101:102], v[28:29], s[18:19], -v[101:102]
	v_mul_f64 v[68:69], v[68:69], s[2:3]
	v_mul_f64 v[105:106], v[56:57], s[34:35]
	v_add_f64 v[103:104], v[109:110], v[103:104]
	v_fma_f64 v[109:110], v[58:59], s[4:5], v[117:118]
	v_add_f64 v[91:92], v[113:114], v[91:92]
	v_fma_f64 v[99:100], v[48:49], s[4:5], -v[95:96]
	v_fma_f64 v[95:96], v[48:49], s[4:5], v[95:96]
	v_fma_f64 v[115:116], v[46:47], s[18:19], -v[97:98]
	v_fma_f64 v[121:122], v[26:27], s[30:31], v[107:108]
	v_fma_f64 v[123:124], v[24:25], s[22:23], v[119:120]
	v_fma_f64 v[107:108], v[26:27], s[30:31], -v[107:108]
	v_fma_f64 v[97:98], v[46:47], s[18:19], v[97:98]
	v_add_f64 v[109:110], v[109:110], v[91:92]
	v_add_f64 v[91:92], v[89:90], v[78:79]
	v_fma_f64 v[78:79], v[30:31], s[4:5], -v[93:94]
	v_add_f64 v[95:96], v[0:1], v[95:96]
	v_mul_f64 v[66:67], v[66:67], s[12:13]
	v_mul_f64 v[113:114], v[60:61], s[40:41]
	v_fma_f64 v[117:118], v[42:43], s[30:31], -v[105:106]
	v_fma_f64 v[105:106], v[42:43], s[30:31], v[105:106]
	v_mul_f64 v[44:45], v[44:45], s[16:17]
	v_add_f64 v[6:7], v[6:7], v[131:132]
	v_add_f64 v[78:79], v[2:3], v[78:79]
	;; [unrolled: 1-line block ×3, first 2 shown]
	v_fma_f64 v[97:98], v[28:29], s[4:5], v[66:67]
	v_add_f64 v[4:5], v[4:5], v[129:130]
	v_mul_f64 v[40:41], v[40:41], s[20:21]
	v_mul_f64 v[52:53], v[52:53], s[2:3]
	v_add_f64 v[99:100], v[0:1], v[99:100]
	v_add_f64 v[6:7], v[6:7], v[139:140]
	;; [unrolled: 1-line block ×3, first 2 shown]
	v_fma_f64 v[101:102], v[24:25], s[22:23], -v[119:120]
	v_fma_f64 v[119:120], v[30:31], s[0:1], v[68:69]
	v_add_f64 v[95:96], v[105:106], v[95:96]
	v_fma_f64 v[105:106], v[26:27], s[14:15], v[44:45]
	v_add_f64 v[4:5], v[4:5], v[137:138]
	v_fma_f64 v[30:31], v[30:31], s[0:1], -v[68:69]
	v_add_f64 v[6:7], v[6:7], v[147:148]
	v_add_f64 v[78:79], v[107:108], v[78:79]
	v_mul_f64 v[50:51], v[50:51], s[12:13]
	v_add_f64 v[107:108], v[2:3], v[119:120]
	v_add_f64 v[99:100], v[115:116], v[99:100]
	v_mul_f64 v[115:116], v[36:37], s[28:29]
	v_mul_f64 v[56:57], v[56:57], s[16:17]
	v_fma_f64 v[28:29], v[28:29], s[4:5], -v[66:67]
	v_add_f64 v[6:7], v[6:7], v[155:156]
	v_add_f64 v[78:79], v[101:102], v[78:79]
	v_fma_f64 v[101:102], v[34:35], s[22:23], v[113:114]
	v_add_f64 v[97:98], v[97:98], v[107:108]
	v_add_f64 v[2:3], v[2:3], v[30:31]
	v_fma_f64 v[30:31], v[46:47], s[4:5], v[50:51]
	v_fma_f64 v[46:47], v[46:47], s[4:5], -v[50:51]
	v_fma_f64 v[26:27], v[26:27], s[14:15], -v[44:45]
	v_add_f64 v[6:7], v[6:7], v[167:168]
	v_add_f64 v[103:104], v[121:122], v[103:104]
	;; [unrolled: 1-line block ×3, first 2 shown]
	v_fma_f64 v[101:102], v[24:25], s[18:19], v[40:41]
	v_add_f64 v[97:98], v[105:106], v[97:98]
	v_add_f64 v[105:106], v[4:5], v[145:146]
	v_fma_f64 v[111:112], v[62:63], s[22:23], v[111:112]
	v_mul_f64 v[121:122], v[54:55], s[28:29]
	v_add_f64 v[6:7], v[6:7], v[171:172]
	v_add_f64 v[99:100], v[117:118], v[99:100]
	v_mul_f64 v[117:118], v[32:33], s[24:25]
	v_fma_f64 v[196:197], v[22:23], s[14:15], v[115:116]
	v_add_f64 v[97:98], v[101:102], v[97:98]
	v_add_f64 v[101:102], v[105:106], v[153:154]
	v_fma_f64 v[115:116], v[22:23], s[14:15], -v[115:116]
	v_mul_f64 v[60:61], v[60:61], s[20:21]
	v_add_f64 v[6:7], v[6:7], v[163:164]
	v_add_f64 v[2:3], v[28:29], v[2:3]
	v_fma_f64 v[28:29], v[42:43], s[14:15], v[56:57]
	v_fma_f64 v[42:43], v[42:43], s[14:15], -v[56:57]
	v_fma_f64 v[24:25], v[24:25], s[18:19], -v[40:41]
	v_add_f64 v[68:69], v[101:102], v[165:166]
	v_fma_f64 v[101:102], v[48:49], s[0:1], v[52:53]
	v_fma_f64 v[48:49], v[48:49], s[0:1], -v[52:53]
	v_add_f64 v[6:7], v[6:7], v[159:160]
	v_mul_f64 v[93:94], v[38:39], s[24:25]
	v_add_f64 v[89:90], v[111:112], v[109:110]
	v_fma_f64 v[109:110], v[20:21], s[0:1], v[117:118]
	v_fma_f64 v[117:118], v[20:21], s[0:1], -v[117:118]
	v_add_f64 v[52:53], v[68:69], v[169:170]
	v_add_f64 v[66:67], v[0:1], v[101:102]
	;; [unrolled: 1-line block ×4, first 2 shown]
	v_fma_f64 v[107:108], v[58:59], s[14:15], v[121:122]
	v_mul_f64 v[36:37], v[36:37], s[26:27]
	v_mul_f64 v[54:55], v[54:55], s[26:27]
	v_add_f64 v[2:3], v[26:27], v[2:3]
	v_add_f64 v[44:45], v[52:53], v[161:162]
	;; [unrolled: 1-line block ×4, first 2 shown]
	v_fma_f64 v[26:27], v[34:35], s[18:19], v[60:61]
	v_fma_f64 v[174:175], v[34:35], s[22:23], -v[113:114]
	v_add_f64 v[6:7], v[6:7], v[151:152]
	v_fma_f64 v[111:112], v[62:63], s[0:1], -v[93:94]
	v_add_f64 v[4:5], v[117:118], v[78:79]
	v_add_f64 v[40:41], v[44:45], v[157:158]
	;; [unrolled: 1-line block ×3, first 2 shown]
	v_fma_f64 v[30:31], v[34:35], s[18:19], -v[60:61]
	v_add_f64 v[0:1], v[42:43], v[0:1]
	v_fma_f64 v[78:79], v[62:63], s[0:1], v[93:94]
	v_add_f64 v[93:94], v[107:108], v[95:96]
	v_mul_f64 v[32:33], v[32:33], s[34:35]
	v_fma_f64 v[95:96], v[22:23], s[22:23], v[36:37]
	v_add_f64 v[34:35], v[40:41], v[149:150]
	v_mul_f64 v[38:39], v[38:39], s[34:35]
	v_fma_f64 v[22:23], v[22:23], s[22:23], -v[36:37]
	v_add_f64 v[2:3], v[24:25], v[2:3]
	v_fma_f64 v[24:25], v[58:59], s[22:23], v[54:55]
	v_add_f64 v[26:27], v[26:27], v[28:29]
	v_fma_f64 v[28:29], v[58:59], s[22:23], -v[54:55]
	v_add_f64 v[0:1], v[30:31], v[0:1]
	v_add_f64 v[6:7], v[6:7], v[143:144]
	;; [unrolled: 1-line block ×4, first 2 shown]
	v_fma_f64 v[123:124], v[58:59], s[14:15], -v[121:122]
	v_add_f64 v[99:100], v[174:175], v[99:100]
	v_fma_f64 v[30:31], v[20:21], s[30:31], -v[32:33]
	v_add_f64 v[2:3], v[22:23], v[2:3]
	v_fma_f64 v[36:37], v[62:63], s[30:31], v[38:39]
	v_add_f64 v[40:41], v[24:25], v[26:27]
	v_fma_f64 v[32:33], v[20:21], s[30:31], v[32:33]
	v_add_f64 v[42:43], v[95:96], v[97:98]
	v_fma_f64 v[38:39], v[62:63], s[30:31], -v[38:39]
	v_add_f64 v[0:1], v[28:29], v[0:1]
	v_mov_b32_e32 v160, v248
	v_mov_b32_e32 v156, v252
	v_add_f64 v[26:27], v[6:7], v[135:136]
	v_add_f64 v[24:25], v[34:35], v[133:134]
	;; [unrolled: 1-line block ×3, first 2 shown]
	v_mov_b32_e32 v137, v173
	buffer_load_dword v172, off, s[52:55], 0 offset:744 ; 4-byte Folded Reload
	buffer_load_dword v173, off, s[52:55], 0 offset:748 ; 4-byte Folded Reload
	;; [unrolled: 1-line block ×12, first 2 shown]
	v_mov_b32_e32 v161, v249
	v_mov_b32_e32 v162, v250
	;; [unrolled: 1-line block ×6, first 2 shown]
	buffer_load_dword v152, off, s[52:55], 0 offset:592 ; 4-byte Folded Reload
	buffer_load_dword v153, off, s[52:55], 0 offset:596 ; 4-byte Folded Reload
	;; [unrolled: 1-line block ×29, first 2 shown]
	v_add_f64 v[22:23], v[30:31], v[2:3]
	v_add_f64 v[20:21], v[36:37], v[40:41]
	v_add_f64 v[2:3], v[78:79], v[93:94]
	v_mov_b32_e32 v129, v229
	v_mov_b32_e32 v113, v184
	;; [unrolled: 1-line block ×14, first 2 shown]
	buffer_load_dword v136, off, s[52:55], 0 offset:584 ; 4-byte Folded Reload
	buffer_load_dword v135, off, s[52:55], 0 offset:548 ; 4-byte Folded Reload
	;; [unrolled: 1-line block ×4, first 2 shown]
	v_add_f64 v[34:35], v[32:33], v[42:43]
	v_add_f64 v[32:33], v[38:39], v[0:1]
	v_lshlrev_b32_e32 v0, 4, v233
	buffer_load_dword v233, off, s[52:55], 0 offset:672 ; 4-byte Folded Reload
	buffer_load_dword v234, off, s[52:55], 0 offset:676 ; 4-byte Folded Reload
	;; [unrolled: 1-line block ×8, first 2 shown]
	v_mov_b32_e32 v185, v228
	v_mov_b32_e32 v184, v227
	;; [unrolled: 1-line block ×3, first 2 shown]
	ds_write_b128 v0, v[24:27]
	ds_write_b128 v0, v[20:23] offset:16
	ds_write_b128 v0, v[2:5] offset:32
	;; [unrolled: 1-line block ×7, first 2 shown]
	v_mov_b32_e32 v228, v128
	v_mov_b32_e32 v227, v127
	;; [unrolled: 1-line block ×4, first 2 shown]
	buffer_load_dword v125, off, s[52:55], 0 offset:760 ; 4-byte Folded Reload
	buffer_load_dword v126, off, s[52:55], 0 offset:764 ; 4-byte Folded Reload
	;; [unrolled: 1-line block ×4, first 2 shown]
	v_mov_b32_e32 v200, v202
	v_mov_b32_e32 v201, v203
	;; [unrolled: 1-line block ×8, first 2 shown]
	buffer_load_dword v209, off, s[52:55], 0 offset:708 ; 4-byte Folded Reload
	buffer_load_dword v208, off, s[52:55], 0 offset:704 ; 4-byte Folded Reload
	v_add_f64 v[103:104], v[196:197], v[103:104]
	v_add_f64 v[28:29], v[111:112], v[99:100]
	v_mov_b32_e32 v190, v11
	v_mov_b32_e32 v199, v15
	;; [unrolled: 1-line block ×6, first 2 shown]
	v_add_f64 v[30:31], v[109:110], v[103:104]
	v_mov_b32_e32 v197, v13
	v_mov_b32_e32 v196, v12
	ds_write_b128 v0, v[16:19] offset:128
	ds_write_b128 v0, v[74:77] offset:144
	;; [unrolled: 1-line block ×5, first 2 shown]
.LBB0_13:
	s_or_b64 exec, exec, s[44:45]
	s_waitcnt vmcnt(0) lgkmcnt(0)
	s_barrier
	ds_read_b128 v[0:3], v80 offset:9360
	ds_read_b128 v[4:7], v80 offset:7488
	;; [unrolled: 1-line block ×4, first 2 shown]
	s_mov_b32 s0, 0xe8584caa
	s_mov_b32 s1, 0xbfebb67a
	s_waitcnt lgkmcnt(3)
	v_mul_f64 v[16:17], v[119:120], v[2:3]
	v_mul_f64 v[18:19], v[119:120], v[0:1]
	s_waitcnt lgkmcnt(1)
	v_mul_f64 v[20:21], v[115:116], v[10:11]
	v_mul_f64 v[22:23], v[115:116], v[8:9]
	s_mov_b32 s3, 0x3febb67a
	s_mov_b32 s2, s0
	;; [unrolled: 1-line block ×4, first 2 shown]
	v_fma_f64 v[16:17], v[117:118], v[0:1], v[16:17]
	v_fma_f64 v[18:19], v[117:118], v[2:3], -v[18:19]
	ds_read_b128 v[0:3], v80 offset:11232
	v_fma_f64 v[20:21], v[113:114], v[8:9], v[20:21]
	v_fma_f64 v[22:23], v[113:114], v[10:11], -v[22:23]
	ds_read_b128 v[8:11], v80 offset:13104
	buffer_load_dword v28, off, s[52:55], 0 offset:396 ; 4-byte Folded Reload
	buffer_load_dword v29, off, s[52:55], 0 offset:400 ; 4-byte Folded Reload
	;; [unrolled: 1-line block ×8, first 2 shown]
	s_mov_b32 s14, 0x372fe950
	s_mov_b32 s15, 0x3fd3c6ef
	v_add_f64 v[56:57], v[16:17], v[20:21]
	s_waitcnt vmcnt(4) lgkmcnt(1)
	v_mul_f64 v[24:25], v[30:31], v[2:3]
	v_mul_f64 v[26:27], v[30:31], v[0:1]
	s_waitcnt lgkmcnt(0)
	v_mul_f64 v[30:31], v[154:155], v[8:9]
	v_fma_f64 v[24:25], v[28:29], v[0:1], v[24:25]
	v_fma_f64 v[26:27], v[28:29], v[2:3], -v[26:27]
	s_waitcnt vmcnt(0)
	v_mul_f64 v[0:1], v[36:37], v[14:15]
	v_mul_f64 v[2:3], v[36:37], v[12:13]
	v_mul_f64 v[28:29], v[154:155], v[10:11]
	v_fma_f64 v[38:39], v[152:153], v[10:11], -v[30:31]
	v_fma_f64 v[32:33], v[34:35], v[12:13], v[0:1]
	v_fma_f64 v[34:35], v[34:35], v[14:15], -v[2:3]
	ds_read_b128 v[0:3], v80 offset:22464
	ds_read_b128 v[12:15], v80 offset:24336
	v_fma_f64 v[36:37], v[152:153], v[8:9], v[28:29]
	ds_read_b128 v[8:11], v80 offset:14976
	s_waitcnt lgkmcnt(2)
	v_mul_f64 v[28:29], v[131:132], v[2:3]
	v_mul_f64 v[30:31], v[131:132], v[0:1]
	v_add_f64 v[68:69], v[24:25], -v[32:33]
	v_add_f64 v[66:67], v[26:27], -v[34:35]
	v_fma_f64 v[40:41], v[129:130], v[0:1], v[28:29]
	v_fma_f64 v[42:43], v[129:130], v[2:3], -v[30:31]
	ds_read_b128 v[0:3], v80 offset:16848
	s_waitcnt lgkmcnt(1)
	v_mul_f64 v[28:29], v[162:163], v[10:11]
	v_mul_f64 v[30:31], v[162:163], v[8:9]
	v_fma_f64 v[44:45], v[160:161], v[8:9], v[28:29]
	v_fma_f64 v[46:47], v[160:161], v[10:11], -v[30:31]
	v_mul_f64 v[28:29], v[158:159], v[14:15]
	v_mul_f64 v[30:31], v[158:159], v[12:13]
	ds_read_b128 v[8:11], v80 offset:26208
	v_fma_f64 v[48:49], v[156:157], v[12:13], v[28:29]
	v_fma_f64 v[50:51], v[156:157], v[14:15], -v[30:31]
	s_waitcnt lgkmcnt(1)
	v_mul_f64 v[12:13], v[170:171], v[2:3]
	v_mul_f64 v[14:15], v[170:171], v[0:1]
	s_waitcnt lgkmcnt(0)
	v_mul_f64 v[30:31], v[166:167], v[8:9]
	v_mul_f64 v[28:29], v[166:167], v[10:11]
	v_fma_f64 v[52:53], v[168:169], v[0:1], v[12:13]
	v_fma_f64 v[54:55], v[168:169], v[2:3], -v[14:15]
	ds_read_b128 v[0:3], v80
	ds_read_b128 v[12:15], v80 offset:1872
	v_fma_f64 v[60:61], v[164:165], v[10:11], -v[30:31]
	v_fma_f64 v[58:59], v[164:165], v[8:9], v[28:29]
	v_add_f64 v[30:31], v[26:27], v[34:35]
	s_waitcnt lgkmcnt(1)
	v_add_f64 v[10:11], v[2:3], v[18:19]
	v_add_f64 v[8:9], v[0:1], v[16:17]
	v_fma_f64 v[28:29], v[56:57], -0.5, v[0:1]
	v_add_f64 v[0:1], v[18:19], v[22:23]
	v_add_f64 v[18:19], v[18:19], -v[22:23]
	s_waitcnt lgkmcnt(0)
	v_add_f64 v[62:63], v[14:15], v[26:27]
	v_add_f64 v[16:17], v[16:17], -v[20:21]
	v_fma_f64 v[30:31], v[30:31], -0.5, v[14:15]
	v_add_f64 v[10:11], v[10:11], v[22:23]
	v_add_f64 v[22:23], v[24:25], v[32:33]
	;; [unrolled: 1-line block ×3, first 2 shown]
	v_fma_f64 v[56:57], v[0:1], -0.5, v[2:3]
	v_fma_f64 v[0:1], v[18:19], s[0:1], v[28:29]
	v_add_f64 v[20:21], v[12:13], v[24:25]
	ds_read_b128 v[24:27], v80 offset:3744
	v_fma_f64 v[22:23], v[22:23], -0.5, v[12:13]
	v_fma_f64 v[12:13], v[18:19], s[2:3], v[28:29]
	v_add_f64 v[18:19], v[62:63], v[34:35]
	v_add_f64 v[62:63], v[38:39], v[42:43]
	v_fma_f64 v[2:3], v[16:17], s[2:3], v[56:57]
	v_fma_f64 v[14:15], v[16:17], s[0:1], v[56:57]
	v_add_f64 v[16:17], v[20:21], v[32:33]
	ds_read_b128 v[32:35], v80 offset:5616
	v_add_f64 v[56:57], v[36:37], v[40:41]
	v_fma_f64 v[20:21], v[66:67], s[0:1], v[22:23]
	v_fma_f64 v[28:29], v[66:67], s[2:3], v[22:23]
	s_waitcnt lgkmcnt(1)
	v_fma_f64 v[62:63], v[62:63], -0.5, v[26:27]
	v_add_f64 v[26:27], v[26:27], v[38:39]
	v_add_f64 v[38:39], v[38:39], -v[42:43]
	v_fma_f64 v[22:23], v[68:69], s[2:3], v[30:31]
	v_fma_f64 v[30:31], v[68:69], s[0:1], v[30:31]
	v_fma_f64 v[56:57], v[56:57], -0.5, v[24:25]
	v_add_f64 v[24:25], v[24:25], v[36:37]
	s_waitcnt lgkmcnt(0)
	s_barrier
	v_add_f64 v[26:27], v[26:27], v[42:43]
	v_add_f64 v[42:43], v[36:37], -v[40:41]
	v_fma_f64 v[36:37], v[38:39], s[0:1], v[56:57]
	v_add_f64 v[24:25], v[24:25], v[40:41]
	v_fma_f64 v[40:41], v[38:39], s[2:3], v[56:57]
	v_add_f64 v[56:57], v[44:45], v[48:49]
	v_fma_f64 v[38:39], v[42:43], s[2:3], v[62:63]
	v_fma_f64 v[42:43], v[42:43], s[0:1], v[62:63]
	v_add_f64 v[62:63], v[46:47], v[50:51]
	v_fma_f64 v[56:57], v[56:57], -0.5, v[32:33]
	v_add_f64 v[32:33], v[32:33], v[44:45]
	v_fma_f64 v[62:63], v[62:63], -0.5, v[34:35]
	v_add_f64 v[34:35], v[34:35], v[46:47]
	v_add_f64 v[46:47], v[46:47], -v[50:51]
	v_add_f64 v[32:33], v[32:33], v[48:49]
	v_add_f64 v[34:35], v[34:35], v[50:51]
	v_add_f64 v[50:51], v[44:45], -v[48:49]
	v_fma_f64 v[44:45], v[46:47], s[0:1], v[56:57]
	v_fma_f64 v[48:49], v[46:47], s[2:3], v[56:57]
	v_add_f64 v[56:57], v[52:53], v[58:59]
	v_fma_f64 v[46:47], v[50:51], s[2:3], v[62:63]
	v_fma_f64 v[50:51], v[50:51], s[0:1], v[62:63]
	v_add_f64 v[62:63], v[54:55], v[60:61]
	v_fma_f64 v[56:57], v[56:57], -0.5, v[4:5]
	v_add_f64 v[4:5], v[4:5], v[52:53]
	v_fma_f64 v[62:63], v[62:63], -0.5, v[6:7]
	v_add_f64 v[6:7], v[6:7], v[54:55]
	v_add_f64 v[54:55], v[54:55], -v[60:61]
	v_add_f64 v[4:5], v[4:5], v[58:59]
	v_add_f64 v[58:59], v[52:53], -v[58:59]
	v_add_f64 v[6:7], v[6:7], v[60:61]
	v_fma_f64 v[52:53], v[54:55], s[0:1], v[56:57]
	v_fma_f64 v[56:57], v[54:55], s[2:3], v[56:57]
	;; [unrolled: 1-line block ×4, first 2 shown]
	ds_write_b128 v135, v[8:11]
	ds_write_b128 v135, v[0:3] offset:208
	ds_write_b128 v135, v[12:15] offset:416
	ds_write_b128 v133, v[16:19]
	ds_write_b128 v133, v[20:23] offset:208
	ds_write_b128 v133, v[28:31] offset:416
	;; [unrolled: 3-line block ×5, first 2 shown]
	s_waitcnt lgkmcnt(0)
	s_barrier
	ds_read_b128 v[0:3], v80 offset:9360
	ds_read_b128 v[4:7], v80
	ds_read_b128 v[8:11], v80 offset:1872
	ds_read_b128 v[12:15], v80 offset:18720
	;; [unrolled: 1-line block ×6, first 2 shown]
	s_waitcnt lgkmcnt(4)
	v_mul_f64 v[60:61], v[140:141], v[14:15]
	v_mul_f64 v[62:63], v[140:141], v[12:13]
	s_waitcnt lgkmcnt(2)
	v_mul_f64 v[66:67], v[174:175], v[22:23]
	v_mul_f64 v[68:69], v[174:175], v[20:21]
	;; [unrolled: 1-line block ×3, first 2 shown]
	ds_read_b128 v[32:35], v80 offset:3744
	ds_read_b128 v[36:39], v80 offset:5616
	;; [unrolled: 1-line block ×6, first 2 shown]
	v_mul_f64 v[56:57], v[144:145], v[2:3]
	v_fma_f64 v[12:13], v[138:139], v[12:13], v[60:61]
	v_mul_f64 v[60:61], v[148:149], v[16:17]
	v_fma_f64 v[20:21], v[172:173], v[20:21], v[66:67]
	s_waitcnt lgkmcnt(7)
	v_mul_f64 v[66:67], v[246:247], v[24:25]
	v_fma_f64 v[14:15], v[138:139], v[14:15], -v[62:63]
	v_mul_f64 v[62:63], v[246:247], v[26:27]
	v_fma_f64 v[22:23], v[172:173], v[22:23], -v[68:69]
	v_fma_f64 v[16:17], v[146:147], v[16:17], v[70:71]
	s_waitcnt lgkmcnt(3)
	v_mul_f64 v[68:69], v[194:195], v[42:43]
	v_fma_f64 v[18:19], v[146:147], v[18:19], -v[60:61]
	v_mul_f64 v[60:61], v[194:195], v[40:41]
	s_waitcnt lgkmcnt(1)
	v_mul_f64 v[70:71], v[254:255], v[50:51]
	v_mul_f64 v[58:59], v[144:145], v[0:1]
	v_fma_f64 v[56:57], v[142:143], v[0:1], v[56:57]
	v_fma_f64 v[26:27], v[244:245], v[26:27], -v[66:67]
	v_mul_f64 v[66:67], v[250:251], v[46:47]
	v_fma_f64 v[24:25], v[244:245], v[24:25], v[62:63]
	v_mul_f64 v[62:63], v[254:255], v[48:49]
	v_fma_f64 v[40:41], v[192:193], v[40:41], v[68:69]
	v_mul_f64 v[68:69], v[250:251], v[44:45]
	v_fma_f64 v[42:43], v[192:193], v[42:43], -v[60:61]
	v_fma_f64 v[60:61], v[252:253], v[48:49], v[70:71]
	s_waitcnt lgkmcnt(0)
	v_mul_f64 v[48:49], v[231:232], v[54:55]
	v_fma_f64 v[58:59], v[142:143], v[2:3], -v[58:59]
	ds_read_b128 v[0:3], v80 offset:26208
	v_fma_f64 v[66:67], v[248:249], v[44:45], v[66:67]
	v_add_f64 v[44:45], v[56:57], v[12:13]
	v_fma_f64 v[50:51], v[252:253], v[50:51], -v[62:63]
	v_mul_f64 v[62:63], v[231:232], v[52:53]
	v_fma_f64 v[46:47], v[248:249], v[46:47], -v[68:69]
	s_waitcnt lgkmcnt(0)
	v_mul_f64 v[68:69], v[123:124], v[2:3]
	v_fma_f64 v[52:53], v[229:230], v[52:53], v[48:49]
	v_add_f64 v[48:49], v[4:5], v[56:57]
	v_add_f64 v[72:73], v[58:59], -v[14:15]
	v_fma_f64 v[44:45], v[44:45], -0.5, v[4:5]
	v_mul_f64 v[70:71], v[123:124], v[0:1]
	v_fma_f64 v[54:55], v[229:230], v[54:55], -v[62:63]
	v_add_f64 v[62:63], v[58:59], v[14:15]
	v_fma_f64 v[68:69], v[121:122], v[0:1], v[68:69]
	v_add_f64 v[56:57], v[56:57], -v[12:13]
	v_add_f64 v[0:1], v[48:49], v[12:13]
	v_add_f64 v[48:49], v[20:21], v[16:17]
	v_fma_f64 v[4:5], v[72:73], s[0:1], v[44:45]
	v_fma_f64 v[12:13], v[72:73], s[2:3], v[44:45]
	v_add_f64 v[44:45], v[8:9], v[20:21]
	v_fma_f64 v[70:71], v[121:122], v[2:3], -v[70:71]
	v_add_f64 v[2:3], v[6:7], v[58:59]
	v_fma_f64 v[58:59], v[62:63], -0.5, v[6:7]
	v_add_f64 v[62:63], v[22:23], v[18:19]
	v_fma_f64 v[48:49], v[48:49], -0.5, v[8:9]
	v_add_f64 v[72:73], v[22:23], -v[18:19]
	v_add_f64 v[22:23], v[10:11], v[22:23]
	v_add_f64 v[8:9], v[44:45], v[16:17]
	;; [unrolled: 1-line block ×4, first 2 shown]
	v_fma_f64 v[6:7], v[56:57], s[2:3], v[58:59]
	v_fma_f64 v[14:15], v[56:57], s[0:1], v[58:59]
	v_fma_f64 v[56:57], v[62:63], -0.5, v[10:11]
	v_add_f64 v[58:59], v[20:21], -v[16:17]
	v_fma_f64 v[16:17], v[72:73], s[0:1], v[48:49]
	v_fma_f64 v[20:21], v[72:73], s[2:3], v[48:49]
	v_add_f64 v[48:49], v[26:27], v[42:43]
	v_add_f64 v[62:63], v[32:33], v[24:25]
	v_fma_f64 v[44:45], v[44:45], -0.5, v[32:33]
	v_add_f64 v[72:73], v[26:27], -v[42:43]
	v_add_f64 v[74:75], v[60:61], v[66:67]
	v_add_f64 v[10:11], v[22:23], v[18:19]
	v_fma_f64 v[18:19], v[58:59], s[2:3], v[56:57]
	v_fma_f64 v[22:23], v[58:59], s[0:1], v[56:57]
	v_add_f64 v[26:27], v[34:35], v[26:27]
	v_fma_f64 v[48:49], v[48:49], -0.5, v[34:35]
	v_add_f64 v[56:57], v[24:25], -v[40:41]
	v_add_f64 v[58:59], v[36:37], v[60:61]
	v_add_f64 v[24:25], v[62:63], v[40:41]
	v_fma_f64 v[32:33], v[72:73], s[0:1], v[44:45]
	v_fma_f64 v[62:63], v[74:75], -0.5, v[36:37]
	v_add_f64 v[74:75], v[50:51], -v[46:47]
	v_fma_f64 v[40:41], v[72:73], s[2:3], v[44:45]
	v_add_f64 v[72:73], v[50:51], v[46:47]
	v_add_f64 v[26:27], v[26:27], v[42:43]
	v_fma_f64 v[34:35], v[56:57], s[2:3], v[48:49]
	v_fma_f64 v[42:43], v[56:57], s[0:1], v[48:49]
	v_add_f64 v[36:37], v[58:59], v[66:67]
	v_add_f64 v[56:57], v[52:53], v[68:69]
	;; [unrolled: 1-line block ×3, first 2 shown]
	v_fma_f64 v[44:45], v[74:75], s[0:1], v[62:63]
	v_fma_f64 v[48:49], v[74:75], s[2:3], v[62:63]
	v_add_f64 v[50:51], v[38:39], v[50:51]
	v_fma_f64 v[62:63], v[72:73], -0.5, v[38:39]
	v_add_f64 v[60:61], v[60:61], -v[66:67]
	v_add_f64 v[66:67], v[28:29], v[52:53]
	v_add_f64 v[72:73], v[54:55], -v[70:71]
	v_add_f64 v[54:55], v[30:31], v[54:55]
	v_fma_f64 v[56:57], v[56:57], -0.5, v[28:29]
	v_fma_f64 v[58:59], v[58:59], -0.5, v[30:31]
	v_add_f64 v[74:75], v[52:53], -v[68:69]
	v_add_f64 v[38:39], v[50:51], v[46:47]
	v_fma_f64 v[46:47], v[60:61], s[2:3], v[62:63]
	v_add_f64 v[28:29], v[66:67], v[68:69]
	v_fma_f64 v[50:51], v[60:61], s[0:1], v[62:63]
	;; [unrolled: 2-line block ×3, first 2 shown]
	v_fma_f64 v[56:57], v[72:73], s[2:3], v[56:57]
	v_fma_f64 v[54:55], v[74:75], s[2:3], v[58:59]
	;; [unrolled: 1-line block ×3, first 2 shown]
	s_barrier
	ds_write_b128 v150, v[0:3]
	ds_write_b128 v150, v[4:7] offset:624
	ds_write_b128 v150, v[12:15] offset:1248
	ds_write_b128 v151, v[8:11]
	ds_write_b128 v151, v[16:19] offset:624
	ds_write_b128 v151, v[20:23] offset:1248
	;; [unrolled: 3-line block ×5, first 2 shown]
	s_waitcnt lgkmcnt(0)
	s_barrier
	ds_read_b128 v[0:3], v80 offset:9360
	ds_read_b128 v[4:7], v80
	ds_read_b128 v[8:11], v80 offset:1872
	ds_read_b128 v[12:15], v80 offset:18720
	;; [unrolled: 1-line block ×10, first 2 shown]
	s_waitcnt lgkmcnt(11)
	v_mul_f64 v[60:61], v[182:183], v[2:3]
	v_mul_f64 v[62:63], v[182:183], v[0:1]
	s_waitcnt lgkmcnt(8)
	v_mul_f64 v[66:67], v[178:179], v[14:15]
	v_mul_f64 v[68:69], v[178:179], v[12:13]
	s_waitcnt lgkmcnt(6)
	v_mul_f64 v[70:71], v[182:183], v[22:23]
	ds_read_b128 v[48:51], v80 offset:14976
	ds_read_b128 v[52:55], v80 offset:16848
	;; [unrolled: 1-line block ×3, first 2 shown]
	s_waitcnt lgkmcnt(0)
	v_fma_f64 v[60:61], v[180:181], v[0:1], v[60:61]
	v_mul_f64 v[0:1], v[182:183], v[20:21]
	v_fma_f64 v[2:3], v[180:181], v[2:3], -v[62:63]
	v_mul_f64 v[62:63], v[178:179], v[18:19]
	v_fma_f64 v[12:13], v[176:177], v[12:13], v[66:67]
	v_mul_f64 v[66:67], v[178:179], v[16:17]
	v_fma_f64 v[14:15], v[176:177], v[14:15], -v[68:69]
	v_mul_f64 v[68:69], v[198:199], v[26:27]
	v_fma_f64 v[20:21], v[180:181], v[20:21], v[70:71]
	v_fma_f64 v[22:23], v[180:181], v[22:23], -v[0:1]
	v_mul_f64 v[0:1], v[198:199], v[24:25]
	v_fma_f64 v[16:17], v[176:177], v[16:17], v[62:63]
	v_mul_f64 v[62:63], v[189:190], v[38:39]
	v_fma_f64 v[18:19], v[176:177], v[18:19], -v[66:67]
	v_mul_f64 v[66:67], v[189:190], v[36:37]
	v_mul_f64 v[70:71], v[206:207], v[50:51]
	v_fma_f64 v[24:25], v[196:197], v[24:25], v[68:69]
	v_mul_f64 v[68:69], v[206:207], v[48:49]
	v_fma_f64 v[26:27], v[196:197], v[26:27], -v[0:1]
	v_mul_f64 v[0:1], v[202:203], v[42:43]
	v_fma_f64 v[36:37], v[187:188], v[36:37], v[62:63]
	v_mul_f64 v[62:63], v[202:203], v[40:41]
	v_fma_f64 v[38:39], v[187:188], v[38:39], -v[66:67]
	v_fma_f64 v[66:67], v[204:205], v[48:49], v[70:71]
	v_mul_f64 v[48:49], v[239:240], v[54:55]
	v_fma_f64 v[50:51], v[204:205], v[50:51], -v[68:69]
	v_mul_f64 v[68:69], v[239:240], v[52:53]
	v_fma_f64 v[70:71], v[200:201], v[40:41], v[0:1]
	v_add_f64 v[0:1], v[60:61], v[12:13]
	v_mul_f64 v[40:41], v[235:236], v[58:59]
	v_fma_f64 v[42:43], v[200:201], v[42:43], -v[62:63]
	v_mul_f64 v[62:63], v[235:236], v[56:57]
	v_fma_f64 v[52:53], v[237:238], v[52:53], v[48:49]
	v_add_f64 v[48:49], v[4:5], v[60:61]
	v_fma_f64 v[54:55], v[237:238], v[54:55], -v[68:69]
	v_add_f64 v[68:69], v[2:3], v[14:15]
	v_fma_f64 v[72:73], v[0:1], -0.5, v[4:5]
	v_add_f64 v[74:75], v[2:3], -v[14:15]
	v_fma_f64 v[56:57], v[233:234], v[56:57], v[40:41]
	v_add_f64 v[40:41], v[20:21], v[16:17]
	v_fma_f64 v[58:59], v[233:234], v[58:59], -v[62:63]
	v_add_f64 v[2:3], v[6:7], v[2:3]
	v_add_f64 v[0:1], v[48:49], v[12:13]
	v_fma_f64 v[48:49], v[68:69], -0.5, v[6:7]
	v_add_f64 v[60:61], v[60:61], -v[12:13]
	v_fma_f64 v[4:5], v[74:75], s[0:1], v[72:73]
	v_fma_f64 v[12:13], v[74:75], s[2:3], v[72:73]
	v_add_f64 v[62:63], v[8:9], v[20:21]
	v_add_f64 v[68:69], v[22:23], v[18:19]
	v_fma_f64 v[40:41], v[40:41], -0.5, v[8:9]
	v_add_f64 v[72:73], v[22:23], -v[18:19]
	v_add_f64 v[2:3], v[2:3], v[14:15]
	v_fma_f64 v[6:7], v[60:61], s[2:3], v[48:49]
	v_add_f64 v[22:23], v[10:11], v[22:23]
	v_fma_f64 v[14:15], v[60:61], s[0:1], v[48:49]
	v_add_f64 v[8:9], v[62:63], v[16:17]
	v_add_f64 v[48:49], v[24:25], v[36:37]
	v_fma_f64 v[60:61], v[68:69], -0.5, v[10:11]
	v_add_f64 v[62:63], v[20:21], -v[16:17]
	v_fma_f64 v[16:17], v[72:73], s[0:1], v[40:41]
	v_fma_f64 v[20:21], v[72:73], s[2:3], v[40:41]
	v_add_f64 v[40:41], v[26:27], v[38:39]
	v_add_f64 v[10:11], v[22:23], v[18:19]
	;; [unrolled: 1-line block ×3, first 2 shown]
	v_fma_f64 v[48:49], v[48:49], -0.5, v[28:29]
	v_add_f64 v[72:73], v[26:27], -v[38:39]
	v_fma_f64 v[18:19], v[62:63], s[2:3], v[60:61]
	v_add_f64 v[74:75], v[66:67], v[70:71]
	v_fma_f64 v[22:23], v[62:63], s[0:1], v[60:61]
	v_add_f64 v[26:27], v[30:31], v[26:27]
	v_fma_f64 v[40:41], v[40:41], -0.5, v[30:31]
	v_add_f64 v[60:61], v[24:25], -v[36:37]
	v_add_f64 v[62:63], v[32:33], v[66:67]
	v_add_f64 v[24:25], v[68:69], v[36:37]
	v_fma_f64 v[28:29], v[72:73], s[0:1], v[48:49]
	v_fma_f64 v[68:69], v[74:75], -0.5, v[32:33]
	v_add_f64 v[74:75], v[50:51], -v[42:43]
	v_fma_f64 v[36:37], v[72:73], s[2:3], v[48:49]
	v_add_f64 v[26:27], v[26:27], v[38:39]
	v_fma_f64 v[30:31], v[60:61], s[2:3], v[40:41]
	v_add_f64 v[72:73], v[50:51], v[42:43]
	;; [unrolled: 2-line block ×3, first 2 shown]
	v_add_f64 v[60:61], v[52:53], v[56:57]
	v_add_f64 v[62:63], v[54:55], v[58:59]
	v_fma_f64 v[40:41], v[74:75], s[0:1], v[68:69]
	v_fma_f64 v[48:49], v[74:75], s[2:3], v[68:69]
	v_add_f64 v[50:51], v[34:35], v[50:51]
	v_fma_f64 v[68:69], v[72:73], -0.5, v[34:35]
	v_add_f64 v[66:67], v[66:67], -v[70:71]
	v_add_f64 v[70:71], v[44:45], v[52:53]
	v_fma_f64 v[60:61], v[60:61], -0.5, v[44:45]
	v_add_f64 v[72:73], v[54:55], -v[58:59]
	;; [unrolled: 3-line block ×3, first 2 shown]
	v_add_f64 v[34:35], v[50:51], v[42:43]
	v_fma_f64 v[42:43], v[66:67], s[2:3], v[68:69]
	v_fma_f64 v[50:51], v[66:67], s[0:1], v[68:69]
	v_add_f64 v[44:45], v[70:71], v[56:57]
	v_fma_f64 v[52:53], v[72:73], s[0:1], v[60:61]
	v_fma_f64 v[56:57], v[72:73], s[2:3], v[60:61]
	;; [unrolled: 3-line block ×3, first 2 shown]
	s_barrier
	ds_write_b128 v80, v[0:3]
	ds_write_b128 v80, v[4:7] offset:1872
	ds_write_b128 v80, v[12:15] offset:3744
	;; [unrolled: 1-line block ×14, first 2 shown]
	s_waitcnt lgkmcnt(0)
	s_barrier
	ds_read_b128 v[0:3], v80
	ds_read_b128 v[4:7], v80 offset:1872
	ds_read_b128 v[8:11], v80 offset:11232
	;; [unrolled: 1-line block ×14, first 2 shown]
	buffer_load_dword v85, off, s[52:55], 0 offset:460 ; 4-byte Folded Reload
	buffer_load_dword v86, off, s[52:55], 0 offset:464 ; 4-byte Folded Reload
	;; [unrolled: 1-line block ×4, first 2 shown]
	s_waitcnt lgkmcnt(8)
	v_mul_f64 v[60:61], v[212:213], v[26:27]
	v_mul_f64 v[62:63], v[212:213], v[24:25]
	;; [unrolled: 1-line block ×4, first 2 shown]
	s_waitcnt lgkmcnt(4)
	v_mul_f64 v[70:71], v[220:221], v[42:43]
	v_mul_f64 v[72:73], v[220:221], v[40:41]
	;; [unrolled: 1-line block ×3, first 2 shown]
	buffer_load_dword v81, off, s[52:55], 0 offset:444 ; 4-byte Folded Reload
	buffer_load_dword v82, off, s[52:55], 0 offset:448 ; 4-byte Folded Reload
	;; [unrolled: 1-line block ×4, first 2 shown]
	v_fma_f64 v[24:25], v[210:211], v[24:25], v[60:61]
	v_mul_f64 v[60:61], v[216:217], v[18:19]
	v_fma_f64 v[26:27], v[210:211], v[26:27], -v[62:63]
	v_fma_f64 v[62:63], v[225:226], v[8:9], v[66:67]
	v_fma_f64 v[66:67], v[225:226], v[10:11], -v[68:69]
	v_fma_f64 v[10:11], v[218:219], v[40:41], v[70:71]
	v_fma_f64 v[40:41], v[218:219], v[42:43], -v[72:73]
	v_mul_f64 v[42:43], v[127:128], v[32:33]
	buffer_load_dword v76, off, s[52:55], 0 offset:428 ; 4-byte Folded Reload
	buffer_load_dword v77, off, s[52:55], 0 offset:432 ; 4-byte Folded Reload
	;; [unrolled: 1-line block ×4, first 2 shown]
	v_fma_f64 v[16:17], v[214:215], v[16:17], v[60:61]
	v_mul_f64 v[8:9], v[127:128], v[34:35]
	v_fma_f64 v[18:19], v[214:215], v[18:19], -v[74:75]
	s_mov_b32 s0, 0x134454ff
	s_mov_b32 s1, 0xbfee6f0e
	;; [unrolled: 1-line block ×3, first 2 shown]
	v_fma_f64 v[34:35], v[125:126], v[34:35], -v[42:43]
	s_mov_b32 s3, 0xbfe2cf23
	s_mov_b32 s4, s0
	v_fma_f64 v[32:33], v[125:126], v[32:33], v[8:9]
	s_mov_b32 s12, s2
	s_waitcnt vmcnt(8)
	v_mul_f64 v[60:61], v[87:88], v[14:15]
	v_mul_f64 v[68:69], v[87:88], v[12:13]
	v_fma_f64 v[42:43], v[85:86], v[12:13], v[60:61]
	v_fma_f64 v[60:61], v[85:86], v[14:15], -v[68:69]
	buffer_load_dword v85, off, s[52:55], 0 offset:508 ; 4-byte Folded Reload
	buffer_load_dword v86, off, s[52:55], 0 offset:512 ; 4-byte Folded Reload
	;; [unrolled: 1-line block ×4, first 2 shown]
	s_waitcnt vmcnt(8) lgkmcnt(2)
	v_mul_f64 v[70:71], v[83:84], v[50:51]
	v_mul_f64 v[72:73], v[83:84], v[48:49]
	s_waitcnt vmcnt(4)
	v_mul_f64 v[8:9], v[78:79], v[22:23]
	v_mul_f64 v[74:75], v[78:79], v[20:21]
	v_fma_f64 v[48:49], v[81:82], v[48:49], v[70:71]
	v_fma_f64 v[50:51], v[81:82], v[50:51], -v[72:73]
	v_add_f64 v[72:73], v[62:63], v[10:11]
	v_fma_f64 v[68:69], v[76:77], v[20:21], v[8:9]
	v_fma_f64 v[70:71], v[76:77], v[22:23], -v[74:75]
	v_add_f64 v[20:21], v[0:1], v[24:25]
	s_waitcnt vmcnt(0)
	v_mul_f64 v[12:13], v[87:88], v[38:39]
	v_mul_f64 v[8:9], v[87:88], v[36:37]
	buffer_load_dword v87, off, s[52:55], 0 offset:524 ; 4-byte Folded Reload
	buffer_load_dword v88, off, s[52:55], 0 offset:528 ; 4-byte Folded Reload
	buffer_load_dword v89, off, s[52:55], 0 offset:532 ; 4-byte Folded Reload
	buffer_load_dword v90, off, s[52:55], 0 offset:536 ; 4-byte Folded Reload
	buffer_load_dword v81, off, s[52:55], 0 offset:492 ; 4-byte Folded Reload
	buffer_load_dword v82, off, s[52:55], 0 offset:496 ; 4-byte Folded Reload
	buffer_load_dword v83, off, s[52:55], 0 offset:500 ; 4-byte Folded Reload
	buffer_load_dword v84, off, s[52:55], 0 offset:504 ; 4-byte Folded Reload
	v_fma_f64 v[74:75], v[85:86], v[36:37], v[12:13]
	v_fma_f64 v[76:77], v[85:86], v[38:39], -v[8:9]
	v_add_f64 v[8:9], v[20:21], v[62:63]
	v_add_f64 v[20:21], v[26:27], -v[18:19]
	v_add_f64 v[38:39], v[66:67], -v[40:41]
	v_add_f64 v[8:9], v[8:9], v[10:11]
	v_add_f64 v[8:9], v[8:9], v[16:17]
	s_waitcnt vmcnt(4)
	v_mul_f64 v[14:15], v[89:90], v[46:47]
	s_waitcnt vmcnt(0) lgkmcnt(1)
	v_mul_f64 v[12:13], v[83:84], v[54:55]
	v_mul_f64 v[36:37], v[83:84], v[52:53]
	buffer_load_dword v83, off, s[52:55], 0 offset:476 ; 4-byte Folded Reload
	buffer_load_dword v84, off, s[52:55], 0 offset:480 ; 4-byte Folded Reload
	;; [unrolled: 1-line block ×4, first 2 shown]
	v_mul_f64 v[22:23], v[89:90], v[44:45]
	v_fma_f64 v[78:79], v[87:88], v[44:45], v[14:15]
	v_fma_f64 v[14:15], v[72:73], -0.5, v[0:1]
	v_fma_f64 v[52:53], v[81:82], v[52:53], v[12:13]
	v_fma_f64 v[54:55], v[81:82], v[54:55], -v[36:37]
	v_add_f64 v[44:45], v[24:25], v[16:17]
	v_fma_f64 v[46:47], v[87:88], v[46:47], -v[22:23]
	v_add_f64 v[72:73], v[24:25], -v[62:63]
	v_add_f64 v[81:82], v[16:17], -v[10:11]
	v_fma_f64 v[36:37], v[20:21], s[0:1], v[14:15]
	v_fma_f64 v[14:15], v[20:21], s[4:5], v[14:15]
	v_fma_f64 v[0:1], v[44:45], -0.5, v[0:1]
	v_add_f64 v[44:45], v[66:67], v[40:41]
	v_fma_f64 v[14:15], v[38:39], s[12:13], v[14:15]
	v_fma_f64 v[44:45], v[44:45], -0.5, v[2:3]
	s_waitcnt vmcnt(0) lgkmcnt(0)
	v_mul_f64 v[12:13], v[85:86], v[58:59]
	v_mul_f64 v[22:23], v[85:86], v[56:57]
	v_add_f64 v[85:86], v[48:49], -v[68:69]
	v_fma_f64 v[56:57], v[83:84], v[56:57], v[12:13]
	v_fma_f64 v[12:13], v[38:39], s[2:3], v[36:37]
	v_add_f64 v[36:37], v[2:3], v[26:27]
	v_fma_f64 v[58:59], v[83:84], v[58:59], -v[22:23]
	v_add_f64 v[22:23], v[72:73], v[81:82]
	v_fma_f64 v[72:73], v[38:39], s[4:5], v[0:1]
	v_add_f64 v[81:82], v[62:63], -v[24:25]
	v_add_f64 v[83:84], v[10:11], -v[16:17]
	v_fma_f64 v[0:1], v[38:39], s[0:1], v[0:1]
	v_add_f64 v[24:25], v[24:25], -v[16:17]
	v_add_f64 v[36:37], v[36:37], v[66:67]
	v_add_f64 v[62:63], v[62:63], -v[10:11]
	v_fma_f64 v[16:17], v[20:21], s[2:3], v[72:73]
	v_add_f64 v[38:39], v[81:82], v[83:84]
	v_fma_f64 v[20:21], v[20:21], s[12:13], v[0:1]
	v_add_f64 v[81:82], v[26:27], v[18:19]
	v_add_f64 v[36:37], v[36:37], v[40:41]
	v_fma_f64 v[72:73], v[24:25], s[4:5], v[44:45]
	v_fma_f64 v[0:1], v[22:23], s[14:15], v[12:13]
	;; [unrolled: 1-line block ×3, first 2 shown]
	v_add_f64 v[22:23], v[26:27], -v[66:67]
	v_fma_f64 v[16:17], v[38:39], s[14:15], v[16:17]
	v_fma_f64 v[20:21], v[38:39], s[14:15], v[20:21]
	v_fma_f64 v[2:3], v[81:82], -0.5, v[2:3]
	v_add_f64 v[10:11], v[36:37], v[18:19]
	v_add_f64 v[36:37], v[18:19], -v[40:41]
	v_add_f64 v[38:39], v[4:5], v[32:33]
	v_fma_f64 v[14:15], v[62:63], s[12:13], v[72:73]
	v_fma_f64 v[44:45], v[24:25], s[0:1], v[44:45]
	v_add_f64 v[72:73], v[42:43], v[48:49]
	v_add_f64 v[26:27], v[66:67], -v[26:27]
	v_fma_f64 v[81:82], v[62:63], s[0:1], v[2:3]
	v_add_f64 v[18:19], v[40:41], -v[18:19]
	v_fma_f64 v[2:3], v[62:63], s[4:5], v[2:3]
	v_add_f64 v[22:23], v[22:23], v[36:37]
	v_add_f64 v[36:37], v[38:39], v[42:43]
	v_fma_f64 v[38:39], v[62:63], s[2:3], v[44:45]
	v_fma_f64 v[40:41], v[72:73], -0.5, v[4:5]
	v_add_f64 v[44:45], v[34:35], -v[70:71]
	v_fma_f64 v[62:63], v[24:25], s[12:13], v[81:82]
	v_add_f64 v[26:27], v[26:27], v[18:19]
	v_fma_f64 v[24:25], v[24:25], s[2:3], v[2:3]
	v_add_f64 v[66:67], v[32:33], v[68:69]
	v_add_f64 v[36:37], v[36:37], v[48:49]
	v_fma_f64 v[2:3], v[22:23], s[14:15], v[14:15]
	v_fma_f64 v[14:15], v[22:23], s[14:15], v[38:39]
	;; [unrolled: 1-line block ×3, first 2 shown]
	v_add_f64 v[72:73], v[60:61], -v[50:51]
	v_fma_f64 v[18:19], v[26:27], s[14:15], v[62:63]
	v_fma_f64 v[22:23], v[26:27], s[14:15], v[24:25]
	v_fma_f64 v[24:25], v[66:67], -0.5, v[4:5]
	v_add_f64 v[4:5], v[36:37], v[68:69]
	v_add_f64 v[26:27], v[32:33], -v[42:43]
	v_add_f64 v[36:37], v[68:69], -v[48:49]
	v_fma_f64 v[40:41], v[44:45], s[4:5], v[40:41]
	v_fma_f64 v[38:39], v[72:73], s[2:3], v[38:39]
	v_add_f64 v[83:84], v[42:43], -v[32:33]
	v_add_f64 v[62:63], v[6:7], v[34:35]
	v_fma_f64 v[81:82], v[72:73], s[4:5], v[24:25]
	v_add_f64 v[66:67], v[60:61], v[50:51]
	v_add_f64 v[68:69], v[32:33], -v[68:69]
	v_add_f64 v[26:27], v[26:27], v[36:37]
	v_fma_f64 v[36:37], v[72:73], s[12:13], v[40:41]
	v_fma_f64 v[40:41], v[72:73], s[0:1], v[24:25]
	v_add_f64 v[42:43], v[42:43], -v[48:49]
	v_add_f64 v[62:63], v[62:63], v[60:61]
	v_fma_f64 v[72:73], v[44:45], s[2:3], v[81:82]
	v_add_f64 v[81:82], v[83:84], v[85:86]
	v_fma_f64 v[66:67], v[66:67], -0.5, v[6:7]
	v_fma_f64 v[24:25], v[26:27], s[14:15], v[38:39]
	v_fma_f64 v[32:33], v[26:27], s[14:15], v[36:37]
	;; [unrolled: 1-line block ×3, first 2 shown]
	v_add_f64 v[44:45], v[34:35], v[70:71]
	v_add_f64 v[38:39], v[62:63], v[50:51]
	;; [unrolled: 1-line block ×3, first 2 shown]
	v_fma_f64 v[36:37], v[81:82], s[14:15], v[72:73]
	v_fma_f64 v[62:63], v[68:69], s[4:5], v[66:67]
	v_add_f64 v[72:73], v[34:35], -v[60:61]
	v_add_f64 v[83:84], v[70:71], -v[50:51]
	v_fma_f64 v[40:41], v[81:82], s[14:15], v[26:27]
	v_fma_f64 v[26:27], v[44:45], -0.5, v[6:7]
	v_add_f64 v[44:45], v[28:29], v[74:75]
	v_fma_f64 v[66:67], v[68:69], s[0:1], v[66:67]
	v_add_f64 v[34:35], v[60:61], -v[34:35]
	v_add_f64 v[50:51], v[50:51], -v[70:71]
	v_add_f64 v[6:7], v[38:39], v[70:71]
	v_fma_f64 v[38:39], v[42:43], s[12:13], v[62:63]
	v_fma_f64 v[48:49], v[48:49], -0.5, v[28:29]
	v_fma_f64 v[81:82], v[42:43], s[0:1], v[26:27]
	v_fma_f64 v[26:27], v[42:43], s[4:5], v[26:27]
	v_add_f64 v[62:63], v[76:77], -v[58:59]
	v_add_f64 v[72:73], v[72:73], v[83:84]
	v_add_f64 v[44:45], v[44:45], v[78:79]
	v_fma_f64 v[42:43], v[42:43], s[2:3], v[66:67]
	v_add_f64 v[50:51], v[34:35], v[50:51]
	v_add_f64 v[70:71], v[46:47], -v[54:55]
	v_fma_f64 v[81:82], v[68:69], s[12:13], v[81:82]
	v_fma_f64 v[68:69], v[68:69], s[2:3], v[26:27]
	;; [unrolled: 1-line block ×3, first 2 shown]
	v_add_f64 v[83:84], v[74:75], -v[78:79]
	v_add_f64 v[85:86], v[56:57], -v[52:53]
	v_add_f64 v[66:67], v[74:75], v[56:57]
	v_add_f64 v[44:45], v[44:45], v[52:53]
	v_fma_f64 v[26:27], v[72:73], s[14:15], v[38:39]
	v_fma_f64 v[34:35], v[72:73], s[14:15], v[42:43]
	;; [unrolled: 1-line block ×4, first 2 shown]
	v_add_f64 v[50:51], v[46:47], v[54:55]
	v_add_f64 v[72:73], v[76:77], v[58:59]
	v_fma_f64 v[60:61], v[70:71], s[2:3], v[60:61]
	v_add_f64 v[83:84], v[83:84], v[85:86]
	v_fma_f64 v[66:67], v[66:67], -0.5, v[28:29]
	v_add_f64 v[28:29], v[44:45], v[56:57]
	v_fma_f64 v[48:49], v[62:63], s[4:5], v[48:49]
	v_add_f64 v[68:69], v[78:79], -v[74:75]
	v_add_f64 v[81:82], v[52:53], -v[56:57]
	v_add_f64 v[85:86], v[30:31], v[76:77]
	v_fma_f64 v[50:51], v[50:51], -0.5, v[30:31]
	v_add_f64 v[56:57], v[74:75], -v[56:57]
	v_add_f64 v[52:53], v[78:79], -v[52:53]
	v_fma_f64 v[30:31], v[72:73], -0.5, v[30:31]
	v_fma_f64 v[44:45], v[83:84], s[14:15], v[60:61]
	v_fma_f64 v[60:61], v[70:71], s[4:5], v[66:67]
	;; [unrolled: 1-line block ×3, first 2 shown]
	v_add_f64 v[68:69], v[68:69], v[81:82]
	v_fma_f64 v[66:67], v[70:71], s[0:1], v[66:67]
	v_add_f64 v[70:71], v[85:86], v[46:47]
	v_fma_f64 v[72:73], v[56:57], s[4:5], v[50:51]
	v_add_f64 v[74:75], v[76:77], -v[46:47]
	v_add_f64 v[78:79], v[58:59], -v[54:55]
	v_fma_f64 v[50:51], v[56:57], s[0:1], v[50:51]
	v_fma_f64 v[81:82], v[52:53], s[0:1], v[30:31]
	v_add_f64 v[46:47], v[46:47], -v[76:77]
	v_add_f64 v[76:77], v[54:55], -v[58:59]
	v_fma_f64 v[30:31], v[52:53], s[4:5], v[30:31]
	v_fma_f64 v[60:61], v[62:63], s[2:3], v[60:61]
	;; [unrolled: 1-line block ×3, first 2 shown]
	v_add_f64 v[54:55], v[70:71], v[54:55]
	v_fma_f64 v[66:67], v[52:53], s[12:13], v[72:73]
	v_add_f64 v[70:71], v[74:75], v[78:79]
	v_fma_f64 v[50:51], v[52:53], s[2:3], v[50:51]
	v_fma_f64 v[72:73], v[56:57], s[12:13], v[81:82]
	v_add_f64 v[74:75], v[46:47], v[76:77]
	v_fma_f64 v[76:77], v[56:57], s[2:3], v[30:31]
	v_fma_f64 v[48:49], v[83:84], s[14:15], v[48:49]
	;; [unrolled: 1-line block ×4, first 2 shown]
	v_add_f64 v[30:31], v[54:55], v[58:59]
	v_fma_f64 v[46:47], v[70:71], s[14:15], v[66:67]
	v_fma_f64 v[50:51], v[70:71], s[14:15], v[50:51]
	v_fma_f64 v[54:55], v[74:75], s[14:15], v[72:73]
	v_fma_f64 v[58:59], v[74:75], s[14:15], v[76:77]
	ds_write_b128 v80, v[8:11]
	ds_write_b128 v80, v[0:3] offset:5616
	ds_write_b128 v80, v[16:19] offset:11232
	;; [unrolled: 1-line block ×14, first 2 shown]
	s_waitcnt lgkmcnt(0)
	s_barrier
	ds_read_b128 v[0:3], v80
	buffer_load_dword v4, off, s[52:55], 0 offset:176 ; 4-byte Folded Reload
	buffer_load_dword v5, off, s[52:55], 0 offset:180 ; 4-byte Folded Reload
	s_mov_b32 s2, 0x68012abd
	s_mov_b32 s3, 0x3f42abd5
	s_waitcnt vmcnt(1)
	v_mov_b32_e32 v14, v4
	s_waitcnt vmcnt(0)
	ds_read_b128 v[4:7], v80 offset:2160
	buffer_load_dword v17, off, s[52:55], 0 offset:376 ; 4-byte Folded Reload
	buffer_load_dword v18, off, s[52:55], 0 offset:380 ; 4-byte Folded Reload
	;; [unrolled: 1-line block ×5, first 2 shown]
	v_mad_u64_u32 v[8:9], s[0:1], s10, v14, 0
	s_waitcnt vmcnt(1) lgkmcnt(1)
	v_mul_f64 v[10:11], v[19:20], v[2:3]
	v_mul_f64 v[12:13], v[19:20], v[0:1]
	buffer_load_dword v19, off, s[52:55], 0 offset:296 ; 4-byte Folded Reload
	buffer_load_dword v20, off, s[52:55], 0 offset:300 ; 4-byte Folded Reload
	;; [unrolled: 1-line block ×4, first 2 shown]
	v_mad_u64_u32 v[14:15], s[0:1], s11, v14, v[9:10]
	s_waitcnt vmcnt(4)
	v_mad_u64_u32 v[15:16], s[0:1], s8, v129, 0
	v_fma_f64 v[0:1], v[17:18], v[0:1], v[10:11]
	v_fma_f64 v[2:3], v[17:18], v[2:3], -v[12:13]
	v_mov_b32_e32 v10, v16
	v_mad_u64_u32 v[10:11], s[0:1], s9, v129, v[10:11]
	v_mov_b32_e32 v9, v14
	v_lshlrev_b64 v[8:9], 4, v[8:9]
	v_mov_b32_e32 v16, v10
	v_mul_f64 v[0:1], v[0:1], s[2:3]
	v_mul_f64 v[2:3], v[2:3], s[2:3]
	v_mov_b32_e32 v14, s7
	v_add_co_u32_e64 v17, s[0:1], s6, v8
	v_addc_co_u32_e64 v18, s[0:1], v14, v9, s[0:1]
	v_lshlrev_b64 v[8:9], 4, v[15:16]
	v_add_co_u32_e64 v14, s[0:1], v17, v8
	v_addc_co_u32_e64 v15, s[0:1], v18, v9, s[0:1]
	global_store_dwordx4 v[14:15], v[0:3], off
	s_mul_i32 s0, s9, 0x87
	s_mul_hi_u32 s1, s8, 0x87
	s_add_i32 s1, s1, s0
	s_mul_i32 s0, s8, 0x87
	s_lshl_b64 s[4:5], s[0:1], 4
	v_mov_b32_e32 v26, s5
	v_add_co_u32_e64 v14, s[0:1], s4, v14
	v_addc_co_u32_e64 v15, s[0:1], v15, v26, s[0:1]
	s_waitcnt vmcnt(1) lgkmcnt(0)
	v_mul_f64 v[10:11], v[21:22], v[6:7]
	v_mul_f64 v[12:13], v[21:22], v[4:5]
	v_fma_f64 v[10:11], v[19:20], v[4:5], v[10:11]
	v_fma_f64 v[12:13], v[19:20], v[6:7], -v[12:13]
	ds_read_b128 v[4:7], v80 offset:4320
	v_mul_f64 v[0:1], v[10:11], s[2:3]
	ds_read_b128 v[8:11], v80 offset:6480
	buffer_load_dword v18, off, s[52:55], 0 offset:312 ; 4-byte Folded Reload
	buffer_load_dword v19, off, s[52:55], 0 offset:316 ; 4-byte Folded Reload
	;; [unrolled: 1-line block ×4, first 2 shown]
	v_mul_f64 v[2:3], v[12:13], s[2:3]
	s_waitcnt vmcnt(0) lgkmcnt(1)
	v_mul_f64 v[12:13], v[20:21], v[6:7]
	v_mul_f64 v[16:17], v[20:21], v[4:5]
	buffer_load_dword v20, off, s[52:55], 0 offset:200 ; 4-byte Folded Reload
	buffer_load_dword v21, off, s[52:55], 0 offset:204 ; 4-byte Folded Reload
	;; [unrolled: 1-line block ×4, first 2 shown]
	v_fma_f64 v[4:5], v[18:19], v[4:5], v[12:13]
	v_fma_f64 v[12:13], v[18:19], v[6:7], -v[16:17]
	global_store_dwordx4 v[14:15], v[0:3], off
	v_add_co_u32_e64 v14, s[0:1], s4, v14
	v_addc_co_u32_e64 v15, s[0:1], v15, v26, s[0:1]
	v_mul_f64 v[0:1], v[4:5], s[2:3]
	ds_read_b128 v[4:7], v80 offset:8640
	v_mul_f64 v[2:3], v[12:13], s[2:3]
	s_waitcnt vmcnt(1) lgkmcnt(1)
	v_mul_f64 v[16:17], v[22:23], v[10:11]
	v_mul_f64 v[18:19], v[22:23], v[8:9]
	v_fma_f64 v[12:13], v[20:21], v[8:9], v[16:17]
	v_fma_f64 v[16:17], v[20:21], v[10:11], -v[18:19]
	ds_read_b128 v[8:11], v80 offset:10800
	buffer_load_dword v22, off, s[52:55], 0 offset:328 ; 4-byte Folded Reload
	buffer_load_dword v23, off, s[52:55], 0 offset:332 ; 4-byte Folded Reload
	;; [unrolled: 1-line block ×4, first 2 shown]
	s_waitcnt vmcnt(0) lgkmcnt(1)
	v_mul_f64 v[18:19], v[24:25], v[6:7]
	v_mul_f64 v[20:21], v[24:25], v[4:5]
	global_store_dwordx4 v[14:15], v[0:3], off
	v_add_co_u32_e64 v14, s[0:1], s4, v14
	v_mul_f64 v[0:1], v[12:13], s[2:3]
	v_mul_f64 v[2:3], v[16:17], s[2:3]
	v_addc_co_u32_e64 v15, s[0:1], v15, v26, s[0:1]
	v_fma_f64 v[4:5], v[22:23], v[4:5], v[18:19]
	v_fma_f64 v[12:13], v[22:23], v[6:7], -v[20:21]
	buffer_load_dword v20, off, s[52:55], 0 offset:216 ; 4-byte Folded Reload
	buffer_load_dword v21, off, s[52:55], 0 offset:220 ; 4-byte Folded Reload
	;; [unrolled: 1-line block ×4, first 2 shown]
	s_waitcnt vmcnt(0) lgkmcnt(0)
	v_mul_f64 v[16:17], v[22:23], v[10:11]
	v_mul_f64 v[18:19], v[22:23], v[8:9]
	global_store_dwordx4 v[14:15], v[0:3], off
	v_add_co_u32_e64 v14, s[0:1], s4, v14
	v_mul_f64 v[0:1], v[4:5], s[2:3]
	ds_read_b128 v[4:7], v80 offset:12960
	v_mul_f64 v[2:3], v[12:13], s[2:3]
	v_fma_f64 v[12:13], v[20:21], v[8:9], v[16:17]
	v_fma_f64 v[16:17], v[20:21], v[10:11], -v[18:19]
	ds_read_b128 v[8:11], v80 offset:15120
	buffer_load_dword v22, off, s[52:55], 0 offset:344 ; 4-byte Folded Reload
	buffer_load_dword v23, off, s[52:55], 0 offset:348 ; 4-byte Folded Reload
	;; [unrolled: 1-line block ×4, first 2 shown]
	v_addc_co_u32_e64 v15, s[0:1], v15, v26, s[0:1]
	global_store_dwordx4 v[14:15], v[0:3], off
	s_nop 0
	v_mul_f64 v[0:1], v[12:13], s[2:3]
	v_mul_f64 v[2:3], v[16:17], s[2:3]
	v_add_co_u32_e64 v14, s[0:1], s4, v14
	v_addc_co_u32_e64 v15, s[0:1], v15, v26, s[0:1]
	s_waitcnt vmcnt(1) lgkmcnt(1)
	v_mul_f64 v[18:19], v[24:25], v[6:7]
	v_mul_f64 v[20:21], v[24:25], v[4:5]
	v_fma_f64 v[4:5], v[22:23], v[4:5], v[18:19]
	v_fma_f64 v[12:13], v[22:23], v[6:7], -v[20:21]
	buffer_load_dword v20, off, s[52:55], 0 offset:232 ; 4-byte Folded Reload
	buffer_load_dword v21, off, s[52:55], 0 offset:236 ; 4-byte Folded Reload
	buffer_load_dword v22, off, s[52:55], 0 offset:240 ; 4-byte Folded Reload
	buffer_load_dword v23, off, s[52:55], 0 offset:244 ; 4-byte Folded Reload
	s_waitcnt vmcnt(0) lgkmcnt(0)
	v_mul_f64 v[16:17], v[22:23], v[10:11]
	v_mul_f64 v[18:19], v[22:23], v[8:9]
	global_store_dwordx4 v[14:15], v[0:3], off
	v_add_co_u32_e64 v14, s[0:1], s4, v14
	v_mul_f64 v[0:1], v[4:5], s[2:3]
	ds_read_b128 v[4:7], v80 offset:17280
	v_mul_f64 v[2:3], v[12:13], s[2:3]
	v_fma_f64 v[12:13], v[20:21], v[8:9], v[16:17]
	v_fma_f64 v[16:17], v[20:21], v[10:11], -v[18:19]
	ds_read_b128 v[8:11], v80 offset:19440
	buffer_load_dword v22, off, s[52:55], 0 offset:360 ; 4-byte Folded Reload
	buffer_load_dword v23, off, s[52:55], 0 offset:364 ; 4-byte Folded Reload
	;; [unrolled: 1-line block ×4, first 2 shown]
	v_addc_co_u32_e64 v15, s[0:1], v15, v26, s[0:1]
	global_store_dwordx4 v[14:15], v[0:3], off
	s_nop 0
	v_mul_f64 v[0:1], v[12:13], s[2:3]
	v_mul_f64 v[2:3], v[16:17], s[2:3]
	v_add_co_u32_e64 v14, s[0:1], s4, v14
	v_addc_co_u32_e64 v15, s[0:1], v15, v26, s[0:1]
	s_waitcnt vmcnt(1) lgkmcnt(1)
	v_mul_f64 v[18:19], v[24:25], v[6:7]
	v_mul_f64 v[20:21], v[24:25], v[4:5]
	v_fma_f64 v[4:5], v[22:23], v[4:5], v[18:19]
	v_fma_f64 v[12:13], v[22:23], v[6:7], -v[20:21]
	buffer_load_dword v20, off, s[52:55], 0 offset:248 ; 4-byte Folded Reload
	buffer_load_dword v21, off, s[52:55], 0 offset:252 ; 4-byte Folded Reload
	;; [unrolled: 1-line block ×4, first 2 shown]
	s_waitcnt vmcnt(0) lgkmcnt(0)
	v_mul_f64 v[16:17], v[22:23], v[10:11]
	v_mul_f64 v[18:19], v[22:23], v[8:9]
	global_store_dwordx4 v[14:15], v[0:3], off
	v_add_co_u32_e64 v22, s[0:1], s4, v14
	v_mul_f64 v[0:1], v[4:5], s[2:3]
	ds_read_b128 v[4:7], v80 offset:21600
	v_mul_f64 v[2:3], v[12:13], s[2:3]
	v_fma_f64 v[12:13], v[20:21], v[8:9], v[16:17]
	v_fma_f64 v[16:17], v[20:21], v[10:11], -v[18:19]
	ds_read_b128 v[8:11], v80 offset:23760
	buffer_load_dword v27, off, s[52:55], 0 offset:264 ; 4-byte Folded Reload
	buffer_load_dword v28, off, s[52:55], 0 offset:268 ; 4-byte Folded Reload
	;; [unrolled: 1-line block ×4, first 2 shown]
	v_addc_co_u32_e64 v23, s[0:1], v15, v26, s[0:1]
	global_store_dwordx4 v[22:23], v[0:3], off
	s_nop 0
	v_mul_f64 v[0:1], v[12:13], s[2:3]
	ds_read_b128 v[12:15], v80 offset:25920
	v_mul_f64 v[2:3], v[16:17], s[2:3]
	v_add_co_u32_e64 v22, s[0:1], s4, v22
	v_addc_co_u32_e64 v23, s[0:1], v23, v26, s[0:1]
	s_waitcnt vmcnt(1) lgkmcnt(2)
	v_mul_f64 v[18:19], v[29:30], v[6:7]
	v_mul_f64 v[20:21], v[29:30], v[4:5]
	v_fma_f64 v[4:5], v[27:28], v[4:5], v[18:19]
	v_fma_f64 v[6:7], v[27:28], v[6:7], -v[20:21]
	buffer_load_dword v27, off, s[52:55], 0 offset:184 ; 4-byte Folded Reload
	buffer_load_dword v28, off, s[52:55], 0 offset:188 ; 4-byte Folded Reload
	;; [unrolled: 1-line block ×4, first 2 shown]
	s_waitcnt vmcnt(0) lgkmcnt(1)
	v_mul_f64 v[16:17], v[29:30], v[10:11]
	v_mul_f64 v[18:19], v[29:30], v[8:9]
	buffer_load_dword v29, off, s[52:55], 0 offset:280 ; 4-byte Folded Reload
	buffer_load_dword v30, off, s[52:55], 0 offset:284 ; 4-byte Folded Reload
	;; [unrolled: 1-line block ×4, first 2 shown]
	s_waitcnt vmcnt(0) lgkmcnt(0)
	v_mul_f64 v[20:21], v[31:32], v[14:15]
	v_mul_f64 v[24:25], v[31:32], v[12:13]
	global_store_dwordx4 v[22:23], v[0:3], off
	s_nop 0
	v_mul_f64 v[0:1], v[4:5], s[2:3]
	v_mul_f64 v[2:3], v[6:7], s[2:3]
	v_fma_f64 v[4:5], v[27:28], v[8:9], v[16:17]
	v_fma_f64 v[6:7], v[27:28], v[10:11], -v[18:19]
	v_fma_f64 v[8:9], v[29:30], v[12:13], v[20:21]
	v_fma_f64 v[10:11], v[29:30], v[14:15], -v[24:25]
	v_add_co_u32_e64 v12, s[0:1], s4, v22
	v_addc_co_u32_e64 v13, s[0:1], v23, v26, s[0:1]
	v_mul_f64 v[4:5], v[4:5], s[2:3]
	v_mul_f64 v[6:7], v[6:7], s[2:3]
	;; [unrolled: 1-line block ×4, first 2 shown]
	global_store_dwordx4 v[12:13], v[0:3], off
	s_nop 0
	v_add_co_u32_e64 v0, s[0:1], s4, v12
	v_addc_co_u32_e64 v1, s[0:1], v13, v26, s[0:1]
	global_store_dwordx4 v[0:1], v[4:7], off
	v_add_co_u32_e64 v0, s[0:1], s4, v0
	v_addc_co_u32_e64 v1, s[0:1], v1, v26, s[0:1]
	global_store_dwordx4 v[0:1], v[8:11], off
	s_and_b64 exec, exec, vcc
	s_cbranch_execz .LBB0_15
; %bb.14:
	global_load_dwordx4 v[2:5], v[64:65], off offset:1872
	ds_read_b128 v[6:9], v80 offset:1872
	ds_read_b128 v[10:13], v80 offset:4032
	v_mov_b32_e32 v16, s5
	s_waitcnt vmcnt(0) lgkmcnt(1)
	v_mul_f64 v[14:15], v[8:9], v[4:5]
	v_mul_f64 v[4:5], v[6:7], v[4:5]
	v_fma_f64 v[6:7], v[6:7], v[2:3], v[14:15]
	v_fma_f64 v[4:5], v[2:3], v[8:9], -v[4:5]
	v_mul_f64 v[2:3], v[6:7], s[2:3]
	v_mul_f64 v[4:5], v[4:5], s[2:3]
	v_mov_b32_e32 v6, 0xffffa210
	v_mad_u64_u32 v[6:7], s[0:1], s8, v6, v[0:1]
	s_mul_i32 s0, s9, 0xffffa210
	s_sub_i32 s0, s0, s8
	v_add_u32_e32 v7, s0, v7
	s_movk_i32 s0, 0x1000
	global_store_dwordx4 v[6:7], v[2:5], off
	global_load_dwordx4 v[0:3], v[64:65], off offset:4032
	s_waitcnt vmcnt(0) lgkmcnt(0)
	v_mul_f64 v[4:5], v[12:13], v[2:3]
	v_mul_f64 v[2:3], v[10:11], v[2:3]
	v_fma_f64 v[4:5], v[10:11], v[0:1], v[4:5]
	v_fma_f64 v[2:3], v[0:1], v[12:13], -v[2:3]
	v_mul_f64 v[0:1], v[4:5], s[2:3]
	v_mul_f64 v[2:3], v[2:3], s[2:3]
	v_add_co_u32_e32 v4, vcc, s0, v64
	v_addc_co_u32_e32 v5, vcc, 0, v65, vcc
	v_add_co_u32_e32 v12, vcc, s4, v6
	v_addc_co_u32_e32 v13, vcc, v7, v16, vcc
	global_store_dwordx4 v[12:13], v[0:3], off
	global_load_dwordx4 v[0:3], v[4:5], off offset:2096
	ds_read_b128 v[4:7], v80 offset:6192
	ds_read_b128 v[8:11], v80 offset:8352
	s_movk_i32 s0, 0x2000
	s_waitcnt vmcnt(0) lgkmcnt(1)
	v_mul_f64 v[14:15], v[6:7], v[2:3]
	v_mul_f64 v[2:3], v[4:5], v[2:3]
	v_fma_f64 v[4:5], v[4:5], v[0:1], v[14:15]
	v_fma_f64 v[2:3], v[0:1], v[6:7], -v[2:3]
	v_mul_f64 v[0:1], v[4:5], s[2:3]
	v_mul_f64 v[2:3], v[2:3], s[2:3]
	v_add_co_u32_e32 v4, vcc, s0, v64
	v_addc_co_u32_e32 v5, vcc, 0, v65, vcc
	v_add_co_u32_e32 v6, vcc, s4, v12
	v_addc_co_u32_e32 v7, vcc, v13, v16, vcc
	global_store_dwordx4 v[6:7], v[0:3], off
	global_load_dwordx4 v[0:3], v[4:5], off offset:160
	s_movk_i32 s0, 0x3000
	s_waitcnt vmcnt(0) lgkmcnt(0)
	v_mul_f64 v[12:13], v[10:11], v[2:3]
	v_mul_f64 v[2:3], v[8:9], v[2:3]
	v_fma_f64 v[8:9], v[8:9], v[0:1], v[12:13]
	v_fma_f64 v[2:3], v[0:1], v[10:11], -v[2:3]
	v_add_co_u32_e32 v12, vcc, s4, v6
	v_addc_co_u32_e32 v13, vcc, v7, v16, vcc
	v_mul_f64 v[0:1], v[8:9], s[2:3]
	v_mul_f64 v[2:3], v[2:3], s[2:3]
	global_store_dwordx4 v[12:13], v[0:3], off
	global_load_dwordx4 v[0:3], v[4:5], off offset:2320
	ds_read_b128 v[4:7], v80 offset:10512
	ds_read_b128 v[8:11], v80 offset:12672
	s_waitcnt vmcnt(0) lgkmcnt(1)
	v_mul_f64 v[14:15], v[6:7], v[2:3]
	v_mul_f64 v[2:3], v[4:5], v[2:3]
	v_fma_f64 v[4:5], v[4:5], v[0:1], v[14:15]
	v_fma_f64 v[2:3], v[0:1], v[6:7], -v[2:3]
	v_mul_f64 v[0:1], v[4:5], s[2:3]
	v_mul_f64 v[2:3], v[2:3], s[2:3]
	v_add_co_u32_e32 v4, vcc, s0, v64
	v_addc_co_u32_e32 v5, vcc, 0, v65, vcc
	v_add_co_u32_e32 v6, vcc, s4, v12
	v_addc_co_u32_e32 v7, vcc, v13, v16, vcc
	global_store_dwordx4 v[6:7], v[0:3], off
	global_load_dwordx4 v[0:3], v[4:5], off offset:384
	s_movk_i32 s0, 0x4000
	s_waitcnt vmcnt(0) lgkmcnt(0)
	v_mul_f64 v[12:13], v[10:11], v[2:3]
	v_mul_f64 v[2:3], v[8:9], v[2:3]
	v_fma_f64 v[8:9], v[8:9], v[0:1], v[12:13]
	v_fma_f64 v[2:3], v[0:1], v[10:11], -v[2:3]
	v_add_co_u32_e32 v12, vcc, s4, v6
	v_addc_co_u32_e32 v13, vcc, v7, v16, vcc
	v_mul_f64 v[0:1], v[8:9], s[2:3]
	v_mul_f64 v[2:3], v[2:3], s[2:3]
	global_store_dwordx4 v[12:13], v[0:3], off
	global_load_dwordx4 v[0:3], v[4:5], off offset:2544
	ds_read_b128 v[4:7], v80 offset:14832
	ds_read_b128 v[8:11], v80 offset:16992
	;; [unrolled: 27-line block ×4, first 2 shown]
	s_waitcnt vmcnt(0) lgkmcnt(1)
	v_mul_f64 v[14:15], v[6:7], v[2:3]
	v_mul_f64 v[2:3], v[4:5], v[2:3]
	v_fma_f64 v[4:5], v[4:5], v[0:1], v[14:15]
	v_fma_f64 v[2:3], v[0:1], v[6:7], -v[2:3]
	v_mul_f64 v[0:1], v[4:5], s[2:3]
	v_mul_f64 v[2:3], v[2:3], s[2:3]
	v_add_co_u32_e32 v4, vcc, s0, v64
	v_addc_co_u32_e32 v5, vcc, 0, v65, vcc
	v_add_co_u32_e32 v6, vcc, s4, v12
	v_addc_co_u32_e32 v7, vcc, v13, v16, vcc
	global_store_dwordx4 v[6:7], v[0:3], off
	global_load_dwordx4 v[0:3], v[4:5], off offset:1056
	s_waitcnt vmcnt(0) lgkmcnt(0)
	v_mul_f64 v[12:13], v[10:11], v[2:3]
	v_mul_f64 v[2:3], v[8:9], v[2:3]
	v_fma_f64 v[8:9], v[8:9], v[0:1], v[12:13]
	v_fma_f64 v[2:3], v[0:1], v[10:11], -v[2:3]
	v_mul_f64 v[0:1], v[8:9], s[2:3]
	v_mul_f64 v[2:3], v[2:3], s[2:3]
	v_add_co_u32_e32 v8, vcc, s4, v6
	v_addc_co_u32_e32 v9, vcc, v7, v16, vcc
	global_store_dwordx4 v[8:9], v[0:3], off
	global_load_dwordx4 v[0:3], v[4:5], off offset:3216
	ds_read_b128 v[4:7], v80 offset:27792
	s_waitcnt vmcnt(0) lgkmcnt(0)
	v_mul_f64 v[10:11], v[6:7], v[2:3]
	v_mul_f64 v[2:3], v[4:5], v[2:3]
	v_fma_f64 v[4:5], v[4:5], v[0:1], v[10:11]
	v_fma_f64 v[2:3], v[0:1], v[6:7], -v[2:3]
	v_mul_f64 v[0:1], v[4:5], s[2:3]
	v_mul_f64 v[2:3], v[2:3], s[2:3]
	v_add_co_u32_e32 v4, vcc, s4, v8
	v_addc_co_u32_e32 v5, vcc, v9, v16, vcc
	global_store_dwordx4 v[4:5], v[0:3], off
.LBB0_15:
	s_endpgm
	.section	.rodata,"a",@progbits
	.p2align	6, 0x0
	.amdhsa_kernel bluestein_single_fwd_len1755_dim1_dp_op_CI_CI
		.amdhsa_group_segment_fixed_size 28080
		.amdhsa_private_segment_fixed_size 780
		.amdhsa_kernarg_size 104
		.amdhsa_user_sgpr_count 6
		.amdhsa_user_sgpr_private_segment_buffer 1
		.amdhsa_user_sgpr_dispatch_ptr 0
		.amdhsa_user_sgpr_queue_ptr 0
		.amdhsa_user_sgpr_kernarg_segment_ptr 1
		.amdhsa_user_sgpr_dispatch_id 0
		.amdhsa_user_sgpr_flat_scratch_init 0
		.amdhsa_user_sgpr_private_segment_size 0
		.amdhsa_uses_dynamic_stack 0
		.amdhsa_system_sgpr_private_segment_wavefront_offset 1
		.amdhsa_system_sgpr_workgroup_id_x 1
		.amdhsa_system_sgpr_workgroup_id_y 0
		.amdhsa_system_sgpr_workgroup_id_z 0
		.amdhsa_system_sgpr_workgroup_info 0
		.amdhsa_system_vgpr_workitem_id 0
		.amdhsa_next_free_vgpr 256
		.amdhsa_next_free_sgpr 56
		.amdhsa_reserve_vcc 1
		.amdhsa_reserve_flat_scratch 0
		.amdhsa_float_round_mode_32 0
		.amdhsa_float_round_mode_16_64 0
		.amdhsa_float_denorm_mode_32 3
		.amdhsa_float_denorm_mode_16_64 3
		.amdhsa_dx10_clamp 1
		.amdhsa_ieee_mode 1
		.amdhsa_fp16_overflow 0
		.amdhsa_exception_fp_ieee_invalid_op 0
		.amdhsa_exception_fp_denorm_src 0
		.amdhsa_exception_fp_ieee_div_zero 0
		.amdhsa_exception_fp_ieee_overflow 0
		.amdhsa_exception_fp_ieee_underflow 0
		.amdhsa_exception_fp_ieee_inexact 0
		.amdhsa_exception_int_div_zero 0
	.end_amdhsa_kernel
	.text
.Lfunc_end0:
	.size	bluestein_single_fwd_len1755_dim1_dp_op_CI_CI, .Lfunc_end0-bluestein_single_fwd_len1755_dim1_dp_op_CI_CI
                                        ; -- End function
	.section	.AMDGPU.csdata,"",@progbits
; Kernel info:
; codeLenInByte = 38356
; NumSgprs: 60
; NumVgprs: 256
; ScratchSize: 780
; MemoryBound: 0
; FloatMode: 240
; IeeeMode: 1
; LDSByteSize: 28080 bytes/workgroup (compile time only)
; SGPRBlocks: 7
; VGPRBlocks: 63
; NumSGPRsForWavesPerEU: 60
; NumVGPRsForWavesPerEU: 256
; Occupancy: 1
; WaveLimiterHint : 1
; COMPUTE_PGM_RSRC2:SCRATCH_EN: 1
; COMPUTE_PGM_RSRC2:USER_SGPR: 6
; COMPUTE_PGM_RSRC2:TRAP_HANDLER: 0
; COMPUTE_PGM_RSRC2:TGID_X_EN: 1
; COMPUTE_PGM_RSRC2:TGID_Y_EN: 0
; COMPUTE_PGM_RSRC2:TGID_Z_EN: 0
; COMPUTE_PGM_RSRC2:TIDIG_COMP_CNT: 0
	.type	__hip_cuid_4466748568f703ac,@object ; @__hip_cuid_4466748568f703ac
	.section	.bss,"aw",@nobits
	.globl	__hip_cuid_4466748568f703ac
__hip_cuid_4466748568f703ac:
	.byte	0                               ; 0x0
	.size	__hip_cuid_4466748568f703ac, 1

	.ident	"AMD clang version 19.0.0git (https://github.com/RadeonOpenCompute/llvm-project roc-6.4.0 25133 c7fe45cf4b819c5991fe208aaa96edf142730f1d)"
	.section	".note.GNU-stack","",@progbits
	.addrsig
	.addrsig_sym __hip_cuid_4466748568f703ac
	.amdgpu_metadata
---
amdhsa.kernels:
  - .args:
      - .actual_access:  read_only
        .address_space:  global
        .offset:         0
        .size:           8
        .value_kind:     global_buffer
      - .actual_access:  read_only
        .address_space:  global
        .offset:         8
        .size:           8
        .value_kind:     global_buffer
      - .actual_access:  read_only
        .address_space:  global
        .offset:         16
        .size:           8
        .value_kind:     global_buffer
      - .actual_access:  read_only
        .address_space:  global
        .offset:         24
        .size:           8
        .value_kind:     global_buffer
      - .actual_access:  read_only
        .address_space:  global
        .offset:         32
        .size:           8
        .value_kind:     global_buffer
      - .offset:         40
        .size:           8
        .value_kind:     by_value
      - .address_space:  global
        .offset:         48
        .size:           8
        .value_kind:     global_buffer
      - .address_space:  global
        .offset:         56
        .size:           8
        .value_kind:     global_buffer
      - .address_space:  global
        .offset:         64
        .size:           8
        .value_kind:     global_buffer
      - .address_space:  global
        .offset:         72
        .size:           8
        .value_kind:     global_buffer
      - .offset:         80
        .size:           4
        .value_kind:     by_value
      - .address_space:  global
        .offset:         88
        .size:           8
        .value_kind:     global_buffer
      - .address_space:  global
        .offset:         96
        .size:           8
        .value_kind:     global_buffer
    .group_segment_fixed_size: 28080
    .kernarg_segment_align: 8
    .kernarg_segment_size: 104
    .language:       OpenCL C
    .language_version:
      - 2
      - 0
    .max_flat_workgroup_size: 117
    .name:           bluestein_single_fwd_len1755_dim1_dp_op_CI_CI
    .private_segment_fixed_size: 780
    .sgpr_count:     60
    .sgpr_spill_count: 0
    .symbol:         bluestein_single_fwd_len1755_dim1_dp_op_CI_CI.kd
    .uniform_work_group_size: 1
    .uses_dynamic_stack: false
    .vgpr_count:     256
    .vgpr_spill_count: 238
    .wavefront_size: 64
amdhsa.target:   amdgcn-amd-amdhsa--gfx906
amdhsa.version:
  - 1
  - 2
...

	.end_amdgpu_metadata
